;; amdgpu-corpus repo=zjin-lcf/HeCBench kind=compiled arch=gfx1030 opt=O3
	.amdgcn_target "amdgcn-amd-amdhsa--gfx1030"
	.amdhsa_code_object_version 6
	.text
	.protected	_Z10comm_emptyP15HIP_vector_typeIfLj2EES1_S1_ ; -- Begin function _Z10comm_emptyP15HIP_vector_typeIfLj2EES1_S1_
	.globl	_Z10comm_emptyP15HIP_vector_typeIfLj2EES1_S1_
	.p2align	8
	.type	_Z10comm_emptyP15HIP_vector_typeIfLj2EES1_S1_,@function
_Z10comm_emptyP15HIP_vector_typeIfLj2EES1_S1_: ; @_Z10comm_emptyP15HIP_vector_typeIfLj2EES1_S1_
; %bb.0:
	s_endpgm
	.section	.rodata,"a",@progbits
	.p2align	6, 0x0
	.amdhsa_kernel _Z10comm_emptyP15HIP_vector_typeIfLj2EES1_S1_
		.amdhsa_group_segment_fixed_size 0
		.amdhsa_private_segment_fixed_size 0
		.amdhsa_kernarg_size 24
		.amdhsa_user_sgpr_count 6
		.amdhsa_user_sgpr_private_segment_buffer 1
		.amdhsa_user_sgpr_dispatch_ptr 0
		.amdhsa_user_sgpr_queue_ptr 0
		.amdhsa_user_sgpr_kernarg_segment_ptr 1
		.amdhsa_user_sgpr_dispatch_id 0
		.amdhsa_user_sgpr_flat_scratch_init 0
		.amdhsa_user_sgpr_private_segment_size 0
		.amdhsa_wavefront_size32 1
		.amdhsa_uses_dynamic_stack 0
		.amdhsa_system_sgpr_private_segment_wavefront_offset 0
		.amdhsa_system_sgpr_workgroup_id_x 1
		.amdhsa_system_sgpr_workgroup_id_y 0
		.amdhsa_system_sgpr_workgroup_id_z 0
		.amdhsa_system_sgpr_workgroup_info 0
		.amdhsa_system_vgpr_workitem_id 0
		.amdhsa_next_free_vgpr 1
		.amdhsa_next_free_sgpr 1
		.amdhsa_reserve_vcc 0
		.amdhsa_reserve_flat_scratch 0
		.amdhsa_float_round_mode_32 0
		.amdhsa_float_round_mode_16_64 0
		.amdhsa_float_denorm_mode_32 3
		.amdhsa_float_denorm_mode_16_64 3
		.amdhsa_dx10_clamp 1
		.amdhsa_ieee_mode 1
		.amdhsa_fp16_overflow 0
		.amdhsa_workgroup_processor_mode 1
		.amdhsa_memory_ordered 1
		.amdhsa_forward_progress 1
		.amdhsa_shared_vgpr_count 0
		.amdhsa_exception_fp_ieee_invalid_op 0
		.amdhsa_exception_fp_denorm_src 0
		.amdhsa_exception_fp_ieee_div_zero 0
		.amdhsa_exception_fp_ieee_overflow 0
		.amdhsa_exception_fp_ieee_underflow 0
		.amdhsa_exception_fp_ieee_inexact 0
		.amdhsa_exception_int_div_zero 0
	.end_amdhsa_kernel
	.text
.Lfunc_end0:
	.size	_Z10comm_emptyP15HIP_vector_typeIfLj2EES1_S1_, .Lfunc_end0-_Z10comm_emptyP15HIP_vector_typeIfLj2EES1_S1_
                                        ; -- End function
	.set _Z10comm_emptyP15HIP_vector_typeIfLj2EES1_S1_.num_vgpr, 0
	.set _Z10comm_emptyP15HIP_vector_typeIfLj2EES1_S1_.num_agpr, 0
	.set _Z10comm_emptyP15HIP_vector_typeIfLj2EES1_S1_.numbered_sgpr, 0
	.set _Z10comm_emptyP15HIP_vector_typeIfLj2EES1_S1_.num_named_barrier, 0
	.set _Z10comm_emptyP15HIP_vector_typeIfLj2EES1_S1_.private_seg_size, 0
	.set _Z10comm_emptyP15HIP_vector_typeIfLj2EES1_S1_.uses_vcc, 0
	.set _Z10comm_emptyP15HIP_vector_typeIfLj2EES1_S1_.uses_flat_scratch, 0
	.set _Z10comm_emptyP15HIP_vector_typeIfLj2EES1_S1_.has_dyn_sized_stack, 0
	.set _Z10comm_emptyP15HIP_vector_typeIfLj2EES1_S1_.has_recursion, 0
	.set _Z10comm_emptyP15HIP_vector_typeIfLj2EES1_S1_.has_indirect_call, 0
	.section	.AMDGPU.csdata,"",@progbits
; Kernel info:
; codeLenInByte = 4
; TotalNumSgprs: 0
; NumVgprs: 0
; ScratchSize: 0
; MemoryBound: 0
; FloatMode: 240
; IeeeMode: 1
; LDSByteSize: 0 bytes/workgroup (compile time only)
; SGPRBlocks: 0
; VGPRBlocks: 0
; NumSGPRsForWavesPerEU: 1
; NumVGPRsForWavesPerEU: 1
; Occupancy: 16
; WaveLimiterHint : 0
; COMPUTE_PGM_RSRC2:SCRATCH_EN: 0
; COMPUTE_PGM_RSRC2:USER_SGPR: 6
; COMPUTE_PGM_RSRC2:TRAP_HANDLER: 0
; COMPUTE_PGM_RSRC2:TGID_X_EN: 1
; COMPUTE_PGM_RSRC2:TGID_Y_EN: 0
; COMPUTE_PGM_RSRC2:TGID_Z_EN: 0
; COMPUTE_PGM_RSRC2:TIDIG_COMP_CNT: 0
	.text
	.protected	_Z9comm_initPK15HIP_vector_typeIfLj2EEPS0_S2_i ; -- Begin function _Z9comm_initPK15HIP_vector_typeIfLj2EEPS0_S2_i
	.globl	_Z9comm_initPK15HIP_vector_typeIfLj2EEPS0_S2_i
	.p2align	8
	.type	_Z9comm_initPK15HIP_vector_typeIfLj2EEPS0_S2_i,@function
_Z9comm_initPK15HIP_vector_typeIfLj2EEPS0_S2_i: ; @_Z9comm_initPK15HIP_vector_typeIfLj2EEPS0_S2_i
; %bb.0:
	s_load_dword s8, s[4:5], 0x18
	s_waitcnt lgkmcnt(0)
	s_cmp_lt_i32 s8, 1
	s_cbranch_scc1 .LBB1_7
; %bb.1:
	v_sqrt_f32_e32 v1, 0
	s_load_dword s0, s[4:5], 0x2c
	s_mov_b32 s9, 0
	v_fmac_f32_e32 v1, 0, v1
	v_add_f32_e32 v1, v1, v1
	v_sub_f32_e32 v1, 0x40490fdb, v1
	s_waitcnt lgkmcnt(0)
	s_and_b32 s0, s0, 0xffff
	v_div_scale_f32 v2, null, v1, v1, 1.0
	v_div_scale_f32 v5, vcc_lo, 1.0, v1, 1.0
	v_rcp_f32_e32 v3, v2
	v_fma_f32 v4, -v2, v3, 1.0
	v_fmac_f32_e32 v3, v4, v3
	v_mul_f32_e32 v4, v5, v3
	v_fma_f32 v6, -v2, v4, v5
	v_fmac_f32_e32 v4, v6, v3
	v_fma_f32 v2, -v2, v4, v5
	v_div_fmas_f32 v2, v2, v3, v4
	v_div_fixup_f32 v4, v2, v1, 1.0
	v_div_scale_f32 v3, null, v4, v4, 0x3a83126f
	v_div_scale_f32 v6, vcc_lo, 0x3a83126f, v4, 0x3a83126f
	v_rcp_f32_e32 v5, v3
	v_fma_f32 v1, -v3, v5, 1.0
	v_fmac_f32_e32 v5, v1, v5
	v_mad_u64_u32 v[0:1], null, s6, s0, v[0:1]
	s_clause 0x1
	s_load_dwordx2 s[6:7], s[4:5], 0x10
	s_load_dwordx4 s[0:3], s[4:5], 0x0
	v_mul_f32_e32 v7, v6, v5
	v_mul_lo_u32 v2, v0, s8
	v_fma_f32 v1, -v3, v7, v6
	v_fmac_f32_e32 v7, v1, v5
	v_fma_f32 v0, -v3, v7, v6
	v_mul_lo_u32 v3, v2, s8
	s_waitcnt lgkmcnt(0)
	s_add_u32 s4, s6, 4
	s_addc_u32 s5, s7, 0
	v_div_fmas_f32 v0, v0, v5, v7
	s_lshl_b64 s[6:7], s[8:9], 3
	s_mov_b64 s[10:11], s[4:5]
	v_mov_b32_e32 v5, v3
	v_div_fixup_f32 v4, v0, v4, 0x3a83126f
.LBB1_2:                                ; =>This Loop Header: Depth=1
                                        ;     Child Loop BB1_3 Depth 2
                                        ;       Child Loop BB1_4 Depth 3
	v_add_nc_u32_e32 v0, s9, v2
	v_mov_b32_e32 v7, v3
	s_mov_b64 s[12:13], s[4:5]
	s_mov_b32 s18, 0
	v_mul_lo_u32 v6, v0, s8
.LBB1_3:                                ;   Parent Loop BB1_2 Depth=1
                                        ; =>  This Loop Header: Depth=2
                                        ;       Child Loop BB1_4 Depth 3
	v_mov_b32_e32 v8, 0
	v_mov_b32_e32 v0, v7
	;; [unrolled: 1-line block ×3, first 2 shown]
	s_mov_b32 s19, 0
	s_mov_b64 s[14:15], s[10:11]
	s_mov_b64 s[16:17], s[12:13]
.LBB1_4:                                ;   Parent Loop BB1_2 Depth=1
                                        ;     Parent Loop BB1_3 Depth=2
                                        ; =>    This Inner Loop Header: Depth=3
	v_add_nc_u32_e32 v10, s19, v5
	v_ashrrev_i32_e32 v1, 31, v0
	s_add_u32 s20, s14, -4
	s_addc_u32 s21, s15, -1
	s_add_u32 s22, s16, -4
	v_ashrrev_i32_e32 v11, 31, v10
	v_lshlrev_b64 v[12:13], 3, v[0:1]
	s_addc_u32 s23, s17, -1
	s_add_i32 s19, s19, 1
	s_add_u32 s16, s16, s6
	v_lshlrev_b64 v[10:11], 3, v[10:11]
	v_add_nc_u32_e32 v0, s8, v0
	v_add_co_u32 v12, vcc_lo, s0, v12
	v_add_co_ci_u32_e64 v13, null, s1, v13, vcc_lo
	v_add_co_u32 v10, vcc_lo, s0, v10
	v_add_co_ci_u32_e64 v11, null, s1, v11, vcc_lo
	s_addc_u32 s17, s17, s7
	s_add_u32 s14, s14, 8
	s_clause 0x1
	global_load_dwordx2 v[12:13], v[12:13], off
	global_load_dwordx2 v[10:11], v[10:11], off
	s_load_dwordx2 s[22:23], s[22:23], 0x0
	s_load_dwordx2 s[20:21], s[20:21], 0x0
	s_addc_u32 s15, s15, 0
	s_cmp_eq_u32 s8, s19
	s_waitcnt vmcnt(0) lgkmcnt(0)
	v_mul_f32_e32 v1, s22, v10
	v_mul_f32_e32 v10, s23, v10
	;; [unrolled: 1-line block ×4, first 2 shown]
	v_fma_f32 v1, s20, v12, -v1
	v_fma_f32 v10, s20, v13, -v10
	;; [unrolled: 1-line block ×4, first 2 shown]
	v_add_f32_e32 v1, v8, v1
	v_add_f32_e32 v9, v9, v10
	v_sub_f32_e32 v8, v1, v13
	v_add_f32_e32 v9, v11, v9
	s_cbranch_scc0 .LBB1_4
; %bb.5:                                ;   in Loop: Header=BB1_3 Depth=2
	v_add_nc_u32_e32 v0, s18, v6
	s_add_i32 s18, s18, 1
	v_add_nc_u32_e32 v7, 1, v7
	s_add_u32 s12, s12, 8
	s_addc_u32 s13, s13, 0
	v_ashrrev_i32_e32 v1, 31, v0
	s_cmp_eq_u32 s18, s8
	v_lshlrev_b64 v[0:1], 3, v[0:1]
	v_add_co_u32 v0, vcc_lo, s2, v0
	v_add_co_ci_u32_e64 v1, null, s3, v1, vcc_lo
	global_load_dwordx2 v[10:11], v[0:1], off
	s_waitcnt vmcnt(0)
	v_fma_f32 v9, v4, v9, v10
	v_fma_f32 v10, -v4, v8, v11
	global_store_dwordx2 v[0:1], v[9:10], off
	s_cbranch_scc0 .LBB1_3
; %bb.6:                                ;   in Loop: Header=BB1_2 Depth=1
	s_add_i32 s9, s9, 1
	v_add_nc_u32_e32 v5, s8, v5
	s_add_u32 s10, s10, s6
	s_addc_u32 s11, s11, s7
	s_cmp_eq_u32 s9, s8
	s_cbranch_scc0 .LBB1_2
.LBB1_7:
	s_endpgm
	.section	.rodata,"a",@progbits
	.p2align	6, 0x0
	.amdhsa_kernel _Z9comm_initPK15HIP_vector_typeIfLj2EEPS0_S2_i
		.amdhsa_group_segment_fixed_size 0
		.amdhsa_private_segment_fixed_size 0
		.amdhsa_kernarg_size 288
		.amdhsa_user_sgpr_count 6
		.amdhsa_user_sgpr_private_segment_buffer 1
		.amdhsa_user_sgpr_dispatch_ptr 0
		.amdhsa_user_sgpr_queue_ptr 0
		.amdhsa_user_sgpr_kernarg_segment_ptr 1
		.amdhsa_user_sgpr_dispatch_id 0
		.amdhsa_user_sgpr_flat_scratch_init 0
		.amdhsa_user_sgpr_private_segment_size 0
		.amdhsa_wavefront_size32 1
		.amdhsa_uses_dynamic_stack 0
		.amdhsa_system_sgpr_private_segment_wavefront_offset 0
		.amdhsa_system_sgpr_workgroup_id_x 1
		.amdhsa_system_sgpr_workgroup_id_y 0
		.amdhsa_system_sgpr_workgroup_id_z 0
		.amdhsa_system_sgpr_workgroup_info 0
		.amdhsa_system_vgpr_workitem_id 0
		.amdhsa_next_free_vgpr 15
		.amdhsa_next_free_sgpr 24
		.amdhsa_reserve_vcc 1
		.amdhsa_reserve_flat_scratch 0
		.amdhsa_float_round_mode_32 0
		.amdhsa_float_round_mode_16_64 0
		.amdhsa_float_denorm_mode_32 3
		.amdhsa_float_denorm_mode_16_64 3
		.amdhsa_dx10_clamp 1
		.amdhsa_ieee_mode 1
		.amdhsa_fp16_overflow 0
		.amdhsa_workgroup_processor_mode 1
		.amdhsa_memory_ordered 1
		.amdhsa_forward_progress 1
		.amdhsa_shared_vgpr_count 0
		.amdhsa_exception_fp_ieee_invalid_op 0
		.amdhsa_exception_fp_denorm_src 0
		.amdhsa_exception_fp_ieee_div_zero 0
		.amdhsa_exception_fp_ieee_overflow 0
		.amdhsa_exception_fp_ieee_underflow 0
		.amdhsa_exception_fp_ieee_inexact 0
		.amdhsa_exception_int_div_zero 0
	.end_amdhsa_kernel
	.text
.Lfunc_end1:
	.size	_Z9comm_initPK15HIP_vector_typeIfLj2EEPS0_S2_i, .Lfunc_end1-_Z9comm_initPK15HIP_vector_typeIfLj2EEPS0_S2_i
                                        ; -- End function
	.set _Z9comm_initPK15HIP_vector_typeIfLj2EEPS0_S2_i.num_vgpr, 15
	.set _Z9comm_initPK15HIP_vector_typeIfLj2EEPS0_S2_i.num_agpr, 0
	.set _Z9comm_initPK15HIP_vector_typeIfLj2EEPS0_S2_i.numbered_sgpr, 24
	.set _Z9comm_initPK15HIP_vector_typeIfLj2EEPS0_S2_i.num_named_barrier, 0
	.set _Z9comm_initPK15HIP_vector_typeIfLj2EEPS0_S2_i.private_seg_size, 0
	.set _Z9comm_initPK15HIP_vector_typeIfLj2EEPS0_S2_i.uses_vcc, 1
	.set _Z9comm_initPK15HIP_vector_typeIfLj2EEPS0_S2_i.uses_flat_scratch, 0
	.set _Z9comm_initPK15HIP_vector_typeIfLj2EEPS0_S2_i.has_dyn_sized_stack, 0
	.set _Z9comm_initPK15HIP_vector_typeIfLj2EEPS0_S2_i.has_recursion, 0
	.set _Z9comm_initPK15HIP_vector_typeIfLj2EEPS0_S2_i.has_indirect_call, 0
	.section	.AMDGPU.csdata,"",@progbits
; Kernel info:
; codeLenInByte = 668
; TotalNumSgprs: 26
; NumVgprs: 15
; ScratchSize: 0
; MemoryBound: 0
; FloatMode: 240
; IeeeMode: 1
; LDSByteSize: 0 bytes/workgroup (compile time only)
; SGPRBlocks: 0
; VGPRBlocks: 1
; NumSGPRsForWavesPerEU: 26
; NumVGPRsForWavesPerEU: 15
; Occupancy: 16
; WaveLimiterHint : 0
; COMPUTE_PGM_RSRC2:SCRATCH_EN: 0
; COMPUTE_PGM_RSRC2:USER_SGPR: 6
; COMPUTE_PGM_RSRC2:TRAP_HANDLER: 0
; COMPUTE_PGM_RSRC2:TGID_X_EN: 1
; COMPUTE_PGM_RSRC2:TGID_Y_EN: 0
; COMPUTE_PGM_RSRC2:TGID_Z_EN: 0
; COMPUTE_PGM_RSRC2:TIDIG_COMP_CNT: 0
	.text
	.protected	_Z13comm_refactorPK15HIP_vector_typeIfLj2EEPS0_S2_i ; -- Begin function _Z13comm_refactorPK15HIP_vector_typeIfLj2EEPS0_S2_i
	.globl	_Z13comm_refactorPK15HIP_vector_typeIfLj2EEPS0_S2_i
	.p2align	8
	.type	_Z13comm_refactorPK15HIP_vector_typeIfLj2EEPS0_S2_i,@function
_Z13comm_refactorPK15HIP_vector_typeIfLj2EEPS0_S2_i: ; @_Z13comm_refactorPK15HIP_vector_typeIfLj2EEPS0_S2_i
; %bb.0:
	s_load_dword s22, s[4:5], 0x18
	s_waitcnt lgkmcnt(0)
	s_cmp_lt_i32 s22, 1
	s_cbranch_scc1 .LBB2_7
; %bb.1:
	v_sqrt_f32_e32 v1, 0
	s_clause 0x2
	s_load_dword s7, s[4:5], 0x2c
	s_load_dwordx4 s[0:3], s[4:5], 0x0
	s_load_dwordx2 s[4:5], s[4:5], 0x10
	s_lshl_b32 s8, s22, 1
	s_mov_b32 s27, 0
	s_add_i32 s23, s8, 2
	v_fmac_f32_e32 v1, 0, v1
	v_add_f32_e32 v1, v1, v1
	v_sub_f32_e32 v1, 0x40490fdb, v1
	s_waitcnt lgkmcnt(0)
	s_and_b32 s7, s7, 0xffff
	v_div_scale_f32 v2, null, v1, v1, 1.0
	v_div_scale_f32 v5, vcc_lo, 1.0, v1, 1.0
	v_rcp_f32_e32 v3, v2
	v_fma_f32 v4, -v2, v3, 1.0
	v_fmac_f32_e32 v3, v4, v3
	v_mul_f32_e32 v4, v5, v3
	v_fma_f32 v6, -v2, v4, v5
	v_fmac_f32_e32 v4, v6, v3
	v_fma_f32 v2, -v2, v4, v5
	v_div_fmas_f32 v2, v2, v3, v4
	v_div_fixup_f32 v2, v2, v1, 1.0
	v_div_scale_f32 v3, null, v2, v2, 0x3a83126f
	v_div_scale_f32 v5, vcc_lo, 0x3a83126f, v2, 0x3a83126f
	v_rcp_f32_e32 v4, v3
	v_fma_f32 v1, -v3, v4, 1.0
	v_fmac_f32_e32 v4, v1, v4
	v_mad_u64_u32 v[0:1], null, s6, s7, v[0:1]
	s_mul_i32 s6, s22, s22
	s_mov_b32 s7, 0
	v_mul_f32_e32 v6, v5, v4
	s_mov_b32 s9, s7
	s_mov_b32 s12, s7
	s_lshl_b64 s[10:11], s[8:9], 2
	v_mul_lo_u32 v0, s6, v0
	v_fma_f32 v1, -v3, v6, v5
	s_add_u32 s24, s0, 4
	s_addc_u32 s25, s1, 0
	s_ashr_i32 s9, s8, 31
	s_lshl_b64 s[0:1], s[8:9], 2
	v_fmac_f32_e32 v6, v1, v4
	v_lshlrev_b32_e32 v10, 1, v0
	s_add_u32 s9, s4, 4
	s_addc_u32 s26, s5, 0
	v_fma_f32 v1, -v3, v6, v5
	v_div_fmas_f32 v1, v1, v4, v6
	v_div_fixup_f32 v11, v1, v2, 0x3a83126f
	v_mov_b32_e32 v1, v10
.LBB2_2:                                ; =>This Loop Header: Depth=1
                                        ;     Child Loop BB2_3 Depth 2
                                        ;       Child Loop BB2_4 Depth 3
	v_ashrrev_i32_e32 v2, 31, v1
	s_mov_b32 s13, s7
	s_mov_b64 s[16:17], s[4:5]
	s_lshl_b64 s[14:15], s[12:13], 2
	s_add_u32 s14, s9, s14
	v_lshlrev_b64 v[4:5], 2, v[1:2]
	v_mad_u64_u32 v[2:3], null, s27, s22, v[0:1]
	s_addc_u32 s15, s26, s15
	v_add_co_u32 v3, vcc_lo, s24, v4
	v_add_co_ci_u32_e64 v4, null, s25, v5, vcc_lo
	v_mov_b32_e32 v5, v10
.LBB2_3:                                ;   Parent Loop BB2_2 Depth=1
                                        ; =>  This Loop Header: Depth=2
                                        ;       Child Loop BB2_4 Depth 3
	v_ashrrev_i32_e32 v6, 31, v5
	v_mov_b32_e32 v12, 0
	v_mov_b32_e32 v13, 0
	s_mov_b32 s6, 0
	s_mov_b64 s[18:19], s[14:15]
	v_lshlrev_b64 v[8:9], 2, v[5:6]
	v_mov_b32_e32 v7, v4
	v_mov_b32_e32 v6, v3
	s_mov_b64 s[20:21], s[16:17]
	s_mov_b32 s28, s6
	v_add_co_u32 v8, vcc_lo, s24, v8
	v_add_co_ci_u32_e64 v9, null, s25, v9, vcc_lo
	s_inst_prefetch 0x1
	.p2align	6
.LBB2_4:                                ;   Parent Loop BB2_2 Depth=1
                                        ;     Parent Loop BB2_3 Depth=2
                                        ; =>    This Inner Loop Header: Depth=3
	global_load_dwordx2 v[14:15], v[8:9], off offset:-4
	global_load_dwordx2 v[16:17], v[6:7], off offset:-4
	s_add_u32 s30, s18, -4
	s_addc_u32 s31, s19, -1
	s_lshl_b64 s[34:35], s[6:7], 2
	s_load_dwordx2 s[30:31], s[30:31], 0x0
	s_add_u32 s34, s4, s34
	s_addc_u32 s35, s5, s35
	s_load_dword s29, s[20:21], 0x0
	s_load_dword s33, s[34:35], 0x4
	v_add_co_u32 v8, vcc_lo, v8, s0
	v_add_co_ci_u32_e64 v9, null, s1, v9, vcc_lo
	v_add_co_u32 v6, vcc_lo, v6, 8
	s_add_i32 s28, s28, 1
	s_add_i32 s6, s6, s23
	s_add_u32 s20, s20, s10
	v_add_co_ci_u32_e64 v7, null, 0, v7, vcc_lo
	s_addc_u32 s21, s21, s11
	s_add_u32 s18, s18, 8
	s_addc_u32 s19, s19, 0
	s_cmp_eq_u32 s22, s28
	s_waitcnt vmcnt(1) lgkmcnt(0)
	v_fmac_f32_e32 v13, s30, v14
	v_fmac_f32_e32 v12, s30, v15
	s_waitcnt vmcnt(0)
	v_fma_f32 v13, -v16, s29, v13
	v_fma_f32 v12, -v16, s33, v12
	;; [unrolled: 1-line block ×3, first 2 shown]
	v_fmac_f32_e32 v12, s31, v14
	v_fmac_f32_e32 v13, s33, v17
	v_fma_f32 v12, -s29, v17, v12
	s_cbranch_scc0 .LBB2_4
; %bb.5:                                ;   in Loop: Header=BB2_3 Depth=2
	s_inst_prefetch 0x2
	v_add_lshl_u32 v6, v2, s13, 1
	s_add_i32 s13, s13, 1
	v_add_nc_u32_e32 v5, 2, v5
	s_add_u32 s16, s16, 8
	s_addc_u32 s17, s17, 0
	v_ashrrev_i32_e32 v7, 31, v6
	s_cmp_eq_u32 s13, s22
	v_lshlrev_b64 v[6:7], 2, v[6:7]
	v_add_co_u32 v6, vcc_lo, s2, v6
	v_add_co_ci_u32_e64 v7, null, s3, v7, vcc_lo
	global_load_dwordx2 v[8:9], v[6:7], off
	s_waitcnt vmcnt(0)
	v_fma_f32 v8, v11, v12, v8
	v_fma_f32 v9, -v11, v13, v9
	global_store_dwordx2 v[6:7], v[8:9], off
	s_cbranch_scc0 .LBB2_3
; %bb.6:                                ;   in Loop: Header=BB2_2 Depth=1
	v_add_nc_u32_e32 v1, s8, v1
	s_add_i32 s27, s27, 1
	s_add_i32 s12, s12, s8
	s_cmp_eq_u32 s27, s22
	s_cbranch_scc0 .LBB2_2
.LBB2_7:
	s_endpgm
	.section	.rodata,"a",@progbits
	.p2align	6, 0x0
	.amdhsa_kernel _Z13comm_refactorPK15HIP_vector_typeIfLj2EEPS0_S2_i
		.amdhsa_group_segment_fixed_size 0
		.amdhsa_private_segment_fixed_size 0
		.amdhsa_kernarg_size 288
		.amdhsa_user_sgpr_count 6
		.amdhsa_user_sgpr_private_segment_buffer 1
		.amdhsa_user_sgpr_dispatch_ptr 0
		.amdhsa_user_sgpr_queue_ptr 0
		.amdhsa_user_sgpr_kernarg_segment_ptr 1
		.amdhsa_user_sgpr_dispatch_id 0
		.amdhsa_user_sgpr_flat_scratch_init 0
		.amdhsa_user_sgpr_private_segment_size 0
		.amdhsa_wavefront_size32 1
		.amdhsa_uses_dynamic_stack 0
		.amdhsa_system_sgpr_private_segment_wavefront_offset 0
		.amdhsa_system_sgpr_workgroup_id_x 1
		.amdhsa_system_sgpr_workgroup_id_y 0
		.amdhsa_system_sgpr_workgroup_id_z 0
		.amdhsa_system_sgpr_workgroup_info 0
		.amdhsa_system_vgpr_workitem_id 0
		.amdhsa_next_free_vgpr 18
		.amdhsa_next_free_sgpr 36
		.amdhsa_reserve_vcc 1
		.amdhsa_reserve_flat_scratch 0
		.amdhsa_float_round_mode_32 0
		.amdhsa_float_round_mode_16_64 0
		.amdhsa_float_denorm_mode_32 3
		.amdhsa_float_denorm_mode_16_64 3
		.amdhsa_dx10_clamp 1
		.amdhsa_ieee_mode 1
		.amdhsa_fp16_overflow 0
		.amdhsa_workgroup_processor_mode 1
		.amdhsa_memory_ordered 1
		.amdhsa_forward_progress 1
		.amdhsa_shared_vgpr_count 0
		.amdhsa_exception_fp_ieee_invalid_op 0
		.amdhsa_exception_fp_denorm_src 0
		.amdhsa_exception_fp_ieee_div_zero 0
		.amdhsa_exception_fp_ieee_overflow 0
		.amdhsa_exception_fp_ieee_underflow 0
		.amdhsa_exception_fp_ieee_inexact 0
		.amdhsa_exception_int_div_zero 0
	.end_amdhsa_kernel
	.text
.Lfunc_end2:
	.size	_Z13comm_refactorPK15HIP_vector_typeIfLj2EEPS0_S2_i, .Lfunc_end2-_Z13comm_refactorPK15HIP_vector_typeIfLj2EEPS0_S2_i
                                        ; -- End function
	.set _Z13comm_refactorPK15HIP_vector_typeIfLj2EEPS0_S2_i.num_vgpr, 18
	.set _Z13comm_refactorPK15HIP_vector_typeIfLj2EEPS0_S2_i.num_agpr, 0
	.set _Z13comm_refactorPK15HIP_vector_typeIfLj2EEPS0_S2_i.numbered_sgpr, 36
	.set _Z13comm_refactorPK15HIP_vector_typeIfLj2EEPS0_S2_i.num_named_barrier, 0
	.set _Z13comm_refactorPK15HIP_vector_typeIfLj2EEPS0_S2_i.private_seg_size, 0
	.set _Z13comm_refactorPK15HIP_vector_typeIfLj2EEPS0_S2_i.uses_vcc, 1
	.set _Z13comm_refactorPK15HIP_vector_typeIfLj2EEPS0_S2_i.uses_flat_scratch, 0
	.set _Z13comm_refactorPK15HIP_vector_typeIfLj2EEPS0_S2_i.has_dyn_sized_stack, 0
	.set _Z13comm_refactorPK15HIP_vector_typeIfLj2EEPS0_S2_i.has_recursion, 0
	.set _Z13comm_refactorPK15HIP_vector_typeIfLj2EEPS0_S2_i.has_indirect_call, 0
	.section	.AMDGPU.csdata,"",@progbits
; Kernel info:
; codeLenInByte = 752
; TotalNumSgprs: 38
; NumVgprs: 18
; ScratchSize: 0
; MemoryBound: 0
; FloatMode: 240
; IeeeMode: 1
; LDSByteSize: 0 bytes/workgroup (compile time only)
; SGPRBlocks: 0
; VGPRBlocks: 2
; NumSGPRsForWavesPerEU: 38
; NumVGPRsForWavesPerEU: 18
; Occupancy: 16
; WaveLimiterHint : 0
; COMPUTE_PGM_RSRC2:SCRATCH_EN: 0
; COMPUTE_PGM_RSRC2:USER_SGPR: 6
; COMPUTE_PGM_RSRC2:TRAP_HANDLER: 0
; COMPUTE_PGM_RSRC2:TGID_X_EN: 1
; COMPUTE_PGM_RSRC2:TGID_Y_EN: 0
; COMPUTE_PGM_RSRC2:TGID_Z_EN: 0
; COMPUTE_PGM_RSRC2:TIDIG_COMP_CNT: 0
	.text
	.protected	_Z26comm_refactor_direct_storePK15HIP_vector_typeIfLj2EEPS0_S2_i ; -- Begin function _Z26comm_refactor_direct_storePK15HIP_vector_typeIfLj2EEPS0_S2_i
	.globl	_Z26comm_refactor_direct_storePK15HIP_vector_typeIfLj2EEPS0_S2_i
	.p2align	8
	.type	_Z26comm_refactor_direct_storePK15HIP_vector_typeIfLj2EEPS0_S2_i,@function
_Z26comm_refactor_direct_storePK15HIP_vector_typeIfLj2EEPS0_S2_i: ; @_Z26comm_refactor_direct_storePK15HIP_vector_typeIfLj2EEPS0_S2_i
; %bb.0:
	s_load_dword s22, s[4:5], 0x18
	s_waitcnt lgkmcnt(0)
	s_cmp_lt_i32 s22, 1
	s_cbranch_scc1 .LBB3_7
; %bb.1:
	s_clause 0x2
	s_load_dword s7, s[4:5], 0x2c
	s_load_dwordx4 s[0:3], s[4:5], 0x0
	s_load_dwordx2 s[4:5], s[4:5], 0x10
	s_lshl_b32 s8, s22, 1
	s_mov_b32 s27, 0
	s_add_i32 s23, s8, 2
	s_waitcnt lgkmcnt(0)
	s_and_b32 s7, s7, 0xffff
	v_mad_u64_u32 v[0:1], null, s6, s7, v[0:1]
	s_mul_i32 s6, s22, s22
	s_mov_b32 s7, 0
	s_mov_b32 s9, s7
	;; [unrolled: 1-line block ×3, first 2 shown]
	s_lshl_b64 s[10:11], s[8:9], 2
	v_mul_lo_u32 v0, s6, v0
	s_add_u32 s24, s0, 4
	s_addc_u32 s25, s1, 0
	s_ashr_i32 s9, s8, 31
	s_lshl_b64 s[0:1], s[8:9], 2
	s_add_u32 s9, s4, 4
	s_addc_u32 s26, s5, 0
	v_lshlrev_b32_e32 v15, 1, v0
	v_mov_b32_e32 v1, v15
.LBB3_2:                                ; =>This Loop Header: Depth=1
                                        ;     Child Loop BB3_3 Depth 2
                                        ;       Child Loop BB3_4 Depth 3
	v_ashrrev_i32_e32 v2, 31, v1
	s_mov_b32 s13, s7
	s_mov_b64 s[16:17], s[4:5]
	s_lshl_b64 s[14:15], s[12:13], 2
	s_add_u32 s14, s9, s14
	v_lshlrev_b64 v[4:5], 2, v[1:2]
	v_mad_u64_u32 v[2:3], null, s27, s22, v[0:1]
	s_addc_u32 s15, s26, s15
	v_add_co_u32 v3, vcc_lo, s24, v4
	v_add_co_ci_u32_e64 v4, null, s25, v5, vcc_lo
	v_mov_b32_e32 v5, v15
.LBB3_3:                                ;   Parent Loop BB3_2 Depth=1
                                        ; =>  This Loop Header: Depth=2
                                        ;       Child Loop BB3_4 Depth 3
	v_add_lshl_u32 v6, s13, v2, 1
	v_mov_b32_e32 v14, v4
	v_mov_b32_e32 v13, v3
	s_mov_b32 s6, 0
	s_mov_b64 s[18:19], s[14:15]
	v_ashrrev_i32_e32 v7, 31, v6
	s_mov_b64 s[20:21], s[16:17]
	s_mov_b32 s28, s6
	v_lshlrev_b64 v[7:8], 2, v[6:7]
	v_ashrrev_i32_e32 v6, 31, v5
	v_lshlrev_b64 v[11:12], 2, v[5:6]
	v_add_co_u32 v7, vcc_lo, s2, v7
	v_add_co_ci_u32_e64 v8, null, s3, v8, vcc_lo
	v_add_co_u32 v11, vcc_lo, s24, v11
	global_load_dwordx2 v[9:10], v[7:8], off
	v_add_co_ci_u32_e64 v12, null, s25, v12, vcc_lo
	s_inst_prefetch 0x1
	.p2align	6
.LBB3_4:                                ;   Parent Loop BB3_2 Depth=1
                                        ;     Parent Loop BB3_3 Depth=2
                                        ; =>    This Inner Loop Header: Depth=3
	global_load_dwordx2 v[16:17], v[11:12], off offset:-4
	global_load_dwordx2 v[18:19], v[13:14], off offset:-4
	s_add_u32 s30, s18, -4
	s_addc_u32 s31, s19, -1
	s_lshl_b64 s[34:35], s[6:7], 2
	s_load_dwordx2 s[30:31], s[30:31], 0x0
	s_add_u32 s34, s4, s34
	s_addc_u32 s35, s5, s35
	s_load_dword s29, s[20:21], 0x0
	s_load_dword s33, s[34:35], 0x4
	v_add_co_u32 v11, vcc_lo, v11, s0
	v_add_co_ci_u32_e64 v12, null, s1, v12, vcc_lo
	v_add_co_u32 v13, vcc_lo, v13, 8
	s_add_i32 s28, s28, 1
	s_add_i32 s6, s6, s23
	s_add_u32 s20, s20, s10
	v_add_co_ci_u32_e64 v14, null, 0, v14, vcc_lo
	s_addc_u32 s21, s21, s11
	s_add_u32 s18, s18, 8
	s_addc_u32 s19, s19, 0
	s_cmp_eq_u32 s22, s28
	s_waitcnt vmcnt(1) lgkmcnt(0)
	v_fmac_f32_e32 v9, s30, v17
	v_fma_f32 v6, -s30, v16, v10
	s_waitcnt vmcnt(0)
	v_fma_f32 v9, -v18, s33, v9
	v_fmac_f32_e32 v6, s29, v18
	v_fmac_f32_e32 v9, s31, v16
	;; [unrolled: 1-line block ×3, first 2 shown]
	v_fma_f32 v9, -v19, s29, v9
	v_fma_f32 v10, -s33, v19, v6
	s_cbranch_scc0 .LBB3_4
; %bb.5:                                ;   in Loop: Header=BB3_3 Depth=2
	s_inst_prefetch 0x2
	s_add_i32 s13, s13, 1
	v_add_nc_u32_e32 v5, 2, v5
	s_add_u32 s16, s16, 8
	s_addc_u32 s17, s17, 0
	s_cmp_eq_u32 s13, s22
	global_store_dwordx2 v[7:8], v[9:10], off
	s_cbranch_scc0 .LBB3_3
; %bb.6:                                ;   in Loop: Header=BB3_2 Depth=1
	v_add_nc_u32_e32 v1, s8, v1
	s_add_i32 s27, s27, 1
	s_add_i32 s12, s12, s8
	s_cmp_eq_u32 s27, s22
	s_cbranch_scc0 .LBB3_2
.LBB3_7:
	s_endpgm
	.section	.rodata,"a",@progbits
	.p2align	6, 0x0
	.amdhsa_kernel _Z26comm_refactor_direct_storePK15HIP_vector_typeIfLj2EEPS0_S2_i
		.amdhsa_group_segment_fixed_size 0
		.amdhsa_private_segment_fixed_size 0
		.amdhsa_kernarg_size 288
		.amdhsa_user_sgpr_count 6
		.amdhsa_user_sgpr_private_segment_buffer 1
		.amdhsa_user_sgpr_dispatch_ptr 0
		.amdhsa_user_sgpr_queue_ptr 0
		.amdhsa_user_sgpr_kernarg_segment_ptr 1
		.amdhsa_user_sgpr_dispatch_id 0
		.amdhsa_user_sgpr_flat_scratch_init 0
		.amdhsa_user_sgpr_private_segment_size 0
		.amdhsa_wavefront_size32 1
		.amdhsa_uses_dynamic_stack 0
		.amdhsa_system_sgpr_private_segment_wavefront_offset 0
		.amdhsa_system_sgpr_workgroup_id_x 1
		.amdhsa_system_sgpr_workgroup_id_y 0
		.amdhsa_system_sgpr_workgroup_id_z 0
		.amdhsa_system_sgpr_workgroup_info 0
		.amdhsa_system_vgpr_workitem_id 0
		.amdhsa_next_free_vgpr 20
		.amdhsa_next_free_sgpr 36
		.amdhsa_reserve_vcc 1
		.amdhsa_reserve_flat_scratch 0
		.amdhsa_float_round_mode_32 0
		.amdhsa_float_round_mode_16_64 0
		.amdhsa_float_denorm_mode_32 3
		.amdhsa_float_denorm_mode_16_64 3
		.amdhsa_dx10_clamp 1
		.amdhsa_ieee_mode 1
		.amdhsa_fp16_overflow 0
		.amdhsa_workgroup_processor_mode 1
		.amdhsa_memory_ordered 1
		.amdhsa_forward_progress 1
		.amdhsa_shared_vgpr_count 0
		.amdhsa_exception_fp_ieee_invalid_op 0
		.amdhsa_exception_fp_denorm_src 0
		.amdhsa_exception_fp_ieee_div_zero 0
		.amdhsa_exception_fp_ieee_overflow 0
		.amdhsa_exception_fp_ieee_underflow 0
		.amdhsa_exception_fp_ieee_inexact 0
		.amdhsa_exception_int_div_zero 0
	.end_amdhsa_kernel
	.text
.Lfunc_end3:
	.size	_Z26comm_refactor_direct_storePK15HIP_vector_typeIfLj2EEPS0_S2_i, .Lfunc_end3-_Z26comm_refactor_direct_storePK15HIP_vector_typeIfLj2EEPS0_S2_i
                                        ; -- End function
	.set _Z26comm_refactor_direct_storePK15HIP_vector_typeIfLj2EEPS0_S2_i.num_vgpr, 20
	.set _Z26comm_refactor_direct_storePK15HIP_vector_typeIfLj2EEPS0_S2_i.num_agpr, 0
	.set _Z26comm_refactor_direct_storePK15HIP_vector_typeIfLj2EEPS0_S2_i.numbered_sgpr, 36
	.set _Z26comm_refactor_direct_storePK15HIP_vector_typeIfLj2EEPS0_S2_i.num_named_barrier, 0
	.set _Z26comm_refactor_direct_storePK15HIP_vector_typeIfLj2EEPS0_S2_i.private_seg_size, 0
	.set _Z26comm_refactor_direct_storePK15HIP_vector_typeIfLj2EEPS0_S2_i.uses_vcc, 1
	.set _Z26comm_refactor_direct_storePK15HIP_vector_typeIfLj2EEPS0_S2_i.uses_flat_scratch, 0
	.set _Z26comm_refactor_direct_storePK15HIP_vector_typeIfLj2EEPS0_S2_i.has_dyn_sized_stack, 0
	.set _Z26comm_refactor_direct_storePK15HIP_vector_typeIfLj2EEPS0_S2_i.has_recursion, 0
	.set _Z26comm_refactor_direct_storePK15HIP_vector_typeIfLj2EEPS0_S2_i.has_indirect_call, 0
	.section	.AMDGPU.csdata,"",@progbits
; Kernel info:
; codeLenInByte = 560
; TotalNumSgprs: 38
; NumVgprs: 20
; ScratchSize: 0
; MemoryBound: 0
; FloatMode: 240
; IeeeMode: 1
; LDSByteSize: 0 bytes/workgroup (compile time only)
; SGPRBlocks: 0
; VGPRBlocks: 2
; NumSGPRsForWavesPerEU: 38
; NumVGPRsForWavesPerEU: 20
; Occupancy: 16
; WaveLimiterHint : 0
; COMPUTE_PGM_RSRC2:SCRATCH_EN: 0
; COMPUTE_PGM_RSRC2:USER_SGPR: 6
; COMPUTE_PGM_RSRC2:TRAP_HANDLER: 0
; COMPUTE_PGM_RSRC2:TGID_X_EN: 1
; COMPUTE_PGM_RSRC2:TGID_Y_EN: 0
; COMPUTE_PGM_RSRC2:TGID_Z_EN: 0
; COMPUTE_PGM_RSRC2:TIDIG_COMP_CNT: 0
	.text
	.protected	_Z16comm_aosoa_naivePK15HIP_vector_typeIfLj2EEPS0_S2_i ; -- Begin function _Z16comm_aosoa_naivePK15HIP_vector_typeIfLj2EEPS0_S2_i
	.globl	_Z16comm_aosoa_naivePK15HIP_vector_typeIfLj2EEPS0_S2_i
	.p2align	8
	.type	_Z16comm_aosoa_naivePK15HIP_vector_typeIfLj2EEPS0_S2_i,@function
_Z16comm_aosoa_naivePK15HIP_vector_typeIfLj2EEPS0_S2_i: ; @_Z16comm_aosoa_naivePK15HIP_vector_typeIfLj2EEPS0_S2_i
; %bb.0:
	s_load_dword s8, s[4:5], 0x18
	s_waitcnt lgkmcnt(0)
	s_cmp_lt_i32 s8, 1
	s_cbranch_scc1 .LBB4_7
; %bb.1:
	s_load_dword s0, s[4:5], 0x2c
	s_mul_i32 s22, s8, s8
	s_lshl_b32 s23, s8, 4
	s_mov_b32 s24, 0
	s_waitcnt lgkmcnt(0)
	s_and_b32 s0, s0, 0xffff
	v_mad_u64_u32 v[0:1], null, s6, s0, v[0:1]
	s_clause 0x1
	s_load_dwordx2 s[6:7], s[4:5], 0x10
	s_load_dwordx4 s[0:3], s[4:5], 0x0
	s_lshl_b32 s4, s22, 4
	s_mov_b32 s5, 0
	s_add_i32 s10, s4, -8
	s_mov_b32 s9, s5
	v_ashrrev_i32_e32 v1, 31, v0
	v_mov_b32_e32 v5, v0
	v_lshrrev_b32_e32 v1, 29, v1
	v_add_nc_u32_e32 v1, v0, v1
	s_waitcnt lgkmcnt(0)
	s_mov_b64 s[12:13], s[6:7]
	v_and_b32_e32 v2, -8, v1
	v_ashrrev_i32_e32 v3, 3, v1
	v_sub_nc_u32_e32 v1, v0, v2
	v_mul_lo_u32 v2, s4, v3
	v_mul_lo_u32 v3, v3, s10
	s_lshl_b64 s[10:11], s[8:9], 2
	s_mov_b32 s9, s22
	v_add_nc_u32_e32 v4, 8, v1
.LBB4_2:                                ; =>This Loop Header: Depth=1
                                        ;     Child Loop BB4_3 Depth 2
                                        ;       Child Loop BB4_4 Depth 3
	v_mov_b32_e32 v6, v0
	s_mul_i32 s25, s24, s8
	s_mov_b64 s[14:15], s[6:7]
	s_mov_b32 s26, s22
	s_mov_b32 s27, s5
.LBB4_3:                                ;   Parent Loop BB4_2 Depth=1
                                        ; =>  This Loop Header: Depth=2
                                        ;       Child Loop BB4_4 Depth 3
	v_mov_b32_e32 v8, 0
	v_mov_b32_e32 v9, v5
	;; [unrolled: 1-line block ×4, first 2 shown]
	s_mov_b32 s28, 0
	s_mov_b64 s[16:17], s[12:13]
	s_mov_b64 s[18:19], s[14:15]
	s_mov_b32 s20, s26
.LBB4_4:                                ;   Parent Loop BB4_2 Depth=1
                                        ;     Parent Loop BB4_3 Depth=2
                                        ; =>    This Inner Loop Header: Depth=3
	v_add_nc_u32_e32 v11, v3, v10
	v_add_nc_u32_e32 v13, v3, v9
	s_add_i32 s4, s9, s28
	v_add_nc_u32_e32 v10, s23, v10
	s_lshl_b64 s[30:31], s[4:5], 2
	v_add_nc_u32_e32 v15, 8, v11
	v_ashrrev_i32_e32 v12, 31, v11
	v_ashrrev_i32_e32 v14, 31, v13
	v_add_nc_u32_e32 v17, 8, v13
	s_add_u32 s30, s6, s30
	v_ashrrev_i32_e32 v16, 31, v15
	v_lshlrev_b64 v[11:12], 2, v[11:12]
	v_lshlrev_b64 v[13:14], 2, v[13:14]
	v_ashrrev_i32_e32 v18, 31, v17
	s_addc_u32 s31, s7, s31
	v_lshlrev_b64 v[15:16], 2, v[15:16]
	s_ashr_i32 s21, s20, 31
	v_add_co_u32 v11, vcc_lo, s0, v11
	v_add_co_ci_u32_e64 v12, null, s1, v12, vcc_lo
	v_add_co_u32 v15, vcc_lo, s0, v15
	v_add_co_ci_u32_e64 v16, null, s1, v16, vcc_lo
	;; [unrolled: 2-line block ×3, first 2 shown]
	s_clause 0x1
	global_load_dword v19, v[11:12], off
	global_load_dword v15, v[15:16], off
	v_lshlrev_b64 v[11:12], 2, v[17:18]
	s_load_dword s4, s[16:17], 0x0
	global_load_dword v13, v[13:14], off
	s_lshl_b64 s[34:35], s[20:21], 2
	v_add_nc_u32_e32 v9, 16, v9
	s_add_u32 s34, s6, s34
	v_add_co_u32 v11, vcc_lo, s0, v11
	v_add_co_ci_u32_e64 v12, null, s1, v12, vcc_lo
	s_addc_u32 s35, s7, s35
	s_add_i32 s28, s28, 1
	s_add_i32 s20, s20, s8
	global_load_dword v11, v[11:12], off
	s_load_dword s21, s[18:19], 0x0
	s_clause 0x1
	s_load_dword s29, s[34:35], 0x0
	s_load_dword s30, s[30:31], 0x0
	s_add_u32 s18, s18, s10
	s_addc_u32 s19, s19, s11
	s_add_u32 s16, s16, 4
	s_addc_u32 s17, s17, 0
	s_cmp_eq_u32 s8, s28
	s_waitcnt vmcnt(3) lgkmcnt(0)
	v_fma_f32 v8, -s4, v19, v8
	s_waitcnt vmcnt(2)
	v_fmac_f32_e32 v7, s4, v15
	s_waitcnt vmcnt(1)
	v_fmac_f32_e32 v8, s21, v13
	v_fma_f32 v7, -v13, s29, v7
	v_fmac_f32_e32 v8, s30, v15
	v_fmac_f32_e32 v7, s30, v19
	s_waitcnt vmcnt(0)
	v_fma_f32 v8, -v11, s29, v8
	v_fma_f32 v7, -s21, v11, v7
	s_cbranch_scc0 .LBB4_4
; %bb.5:                                ;   in Loop: Header=BB4_3 Depth=2
	s_add_i32 s4, s27, s25
	s_add_i32 s27, s27, 1
	v_lshl_add_u32 v10, s4, 4, v2
	s_add_i32 s26, s26, 1
	v_add_nc_u32_e32 v6, 16, v6
	s_add_u32 s14, s14, 4
	s_addc_u32 s15, s15, 0
	v_add_nc_u32_e32 v9, v10, v1
	v_add_nc_u32_e32 v11, v4, v10
	s_cmp_eq_u32 s27, s8
	v_ashrrev_i32_e32 v10, 31, v9
	v_ashrrev_i32_e32 v12, 31, v11
	v_lshlrev_b64 v[9:10], 2, v[9:10]
	v_lshlrev_b64 v[11:12], 2, v[11:12]
	v_add_co_u32 v9, vcc_lo, s2, v9
	v_add_co_ci_u32_e64 v10, null, s3, v10, vcc_lo
	v_add_co_u32 v11, vcc_lo, s2, v11
	v_add_co_ci_u32_e64 v12, null, s3, v12, vcc_lo
	s_clause 0x1
	global_load_dword v13, v[9:10], off
	global_load_dword v14, v[11:12], off
	s_waitcnt vmcnt(1)
	v_add_f32_e32 v7, v7, v13
	s_waitcnt vmcnt(0)
	v_add_f32_e32 v8, v8, v14
	global_store_dword v[9:10], v7, off
	global_store_dword v[11:12], v8, off
	s_cbranch_scc0 .LBB4_3
; %bb.6:                                ;   in Loop: Header=BB4_2 Depth=1
	s_add_i32 s24, s24, 1
	s_add_i32 s9, s9, s8
	v_add_nc_u32_e32 v5, s23, v5
	s_add_u32 s12, s12, s10
	s_addc_u32 s13, s13, s11
	s_cmp_eq_u32 s24, s8
	s_cbranch_scc0 .LBB4_2
.LBB4_7:
	s_endpgm
	.section	.rodata,"a",@progbits
	.p2align	6, 0x0
	.amdhsa_kernel _Z16comm_aosoa_naivePK15HIP_vector_typeIfLj2EEPS0_S2_i
		.amdhsa_group_segment_fixed_size 0
		.amdhsa_private_segment_fixed_size 0
		.amdhsa_kernarg_size 288
		.amdhsa_user_sgpr_count 6
		.amdhsa_user_sgpr_private_segment_buffer 1
		.amdhsa_user_sgpr_dispatch_ptr 0
		.amdhsa_user_sgpr_queue_ptr 0
		.amdhsa_user_sgpr_kernarg_segment_ptr 1
		.amdhsa_user_sgpr_dispatch_id 0
		.amdhsa_user_sgpr_flat_scratch_init 0
		.amdhsa_user_sgpr_private_segment_size 0
		.amdhsa_wavefront_size32 1
		.amdhsa_uses_dynamic_stack 0
		.amdhsa_system_sgpr_private_segment_wavefront_offset 0
		.amdhsa_system_sgpr_workgroup_id_x 1
		.amdhsa_system_sgpr_workgroup_id_y 0
		.amdhsa_system_sgpr_workgroup_id_z 0
		.amdhsa_system_sgpr_workgroup_info 0
		.amdhsa_system_vgpr_workitem_id 0
		.amdhsa_next_free_vgpr 20
		.amdhsa_next_free_sgpr 36
		.amdhsa_reserve_vcc 1
		.amdhsa_reserve_flat_scratch 0
		.amdhsa_float_round_mode_32 0
		.amdhsa_float_round_mode_16_64 0
		.amdhsa_float_denorm_mode_32 3
		.amdhsa_float_denorm_mode_16_64 3
		.amdhsa_dx10_clamp 1
		.amdhsa_ieee_mode 1
		.amdhsa_fp16_overflow 0
		.amdhsa_workgroup_processor_mode 1
		.amdhsa_memory_ordered 1
		.amdhsa_forward_progress 1
		.amdhsa_shared_vgpr_count 0
		.amdhsa_exception_fp_ieee_invalid_op 0
		.amdhsa_exception_fp_denorm_src 0
		.amdhsa_exception_fp_ieee_div_zero 0
		.amdhsa_exception_fp_ieee_overflow 0
		.amdhsa_exception_fp_ieee_underflow 0
		.amdhsa_exception_fp_ieee_inexact 0
		.amdhsa_exception_int_div_zero 0
	.end_amdhsa_kernel
	.text
.Lfunc_end4:
	.size	_Z16comm_aosoa_naivePK15HIP_vector_typeIfLj2EEPS0_S2_i, .Lfunc_end4-_Z16comm_aosoa_naivePK15HIP_vector_typeIfLj2EEPS0_S2_i
                                        ; -- End function
	.set _Z16comm_aosoa_naivePK15HIP_vector_typeIfLj2EEPS0_S2_i.num_vgpr, 20
	.set _Z16comm_aosoa_naivePK15HIP_vector_typeIfLj2EEPS0_S2_i.num_agpr, 0
	.set _Z16comm_aosoa_naivePK15HIP_vector_typeIfLj2EEPS0_S2_i.numbered_sgpr, 36
	.set _Z16comm_aosoa_naivePK15HIP_vector_typeIfLj2EEPS0_S2_i.num_named_barrier, 0
	.set _Z16comm_aosoa_naivePK15HIP_vector_typeIfLj2EEPS0_S2_i.private_seg_size, 0
	.set _Z16comm_aosoa_naivePK15HIP_vector_typeIfLj2EEPS0_S2_i.uses_vcc, 1
	.set _Z16comm_aosoa_naivePK15HIP_vector_typeIfLj2EEPS0_S2_i.uses_flat_scratch, 0
	.set _Z16comm_aosoa_naivePK15HIP_vector_typeIfLj2EEPS0_S2_i.has_dyn_sized_stack, 0
	.set _Z16comm_aosoa_naivePK15HIP_vector_typeIfLj2EEPS0_S2_i.has_recursion, 0
	.set _Z16comm_aosoa_naivePK15HIP_vector_typeIfLj2EEPS0_S2_i.has_indirect_call, 0
	.section	.AMDGPU.csdata,"",@progbits
; Kernel info:
; codeLenInByte = 736
; TotalNumSgprs: 38
; NumVgprs: 20
; ScratchSize: 0
; MemoryBound: 0
; FloatMode: 240
; IeeeMode: 1
; LDSByteSize: 0 bytes/workgroup (compile time only)
; SGPRBlocks: 0
; VGPRBlocks: 2
; NumSGPRsForWavesPerEU: 38
; NumVGPRsForWavesPerEU: 20
; Occupancy: 16
; WaveLimiterHint : 0
; COMPUTE_PGM_RSRC2:SCRATCH_EN: 0
; COMPUTE_PGM_RSRC2:USER_SGPR: 6
; COMPUTE_PGM_RSRC2:TRAP_HANDLER: 0
; COMPUTE_PGM_RSRC2:TGID_X_EN: 1
; COMPUTE_PGM_RSRC2:TGID_Y_EN: 0
; COMPUTE_PGM_RSRC2:TGID_Z_EN: 0
; COMPUTE_PGM_RSRC2:TIDIG_COMP_CNT: 0
	.text
	.protected	_Z26comm_aosoa_naive_constantsPK15HIP_vector_typeIfLj2EEPS0_S2_i ; -- Begin function _Z26comm_aosoa_naive_constantsPK15HIP_vector_typeIfLj2EEPS0_S2_i
	.globl	_Z26comm_aosoa_naive_constantsPK15HIP_vector_typeIfLj2EEPS0_S2_i
	.p2align	8
	.type	_Z26comm_aosoa_naive_constantsPK15HIP_vector_typeIfLj2EEPS0_S2_i,@function
_Z26comm_aosoa_naive_constantsPK15HIP_vector_typeIfLj2EEPS0_S2_i: ; @_Z26comm_aosoa_naive_constantsPK15HIP_vector_typeIfLj2EEPS0_S2_i
; %bb.0:
	s_clause 0x1
	s_load_dword s0, s[4:5], 0x2c
	s_load_dwordx2 s[12:13], s[4:5], 0x10
	s_mov_b32 s17, 0
	s_mov_b32 s24, 0
	s_waitcnt lgkmcnt(0)
	s_and_b32 s0, s0, 0xffff
	v_mad_u64_u32 v[2:3], null, s6, s0, v[0:1]
	s_load_dwordx4 s[0:3], s[4:5], 0x0
	s_add_u32 s14, s12, 0x16c
	s_addc_u32 s15, s13, 0
	v_ashrrev_i32_e32 v0, 31, v2
	v_lshrrev_b32_e32 v0, 29, v0
	v_add_nc_u32_e32 v0, v2, v0
	v_ashrrev_i32_e32 v3, 3, v0
	v_and_b32_e32 v4, -8, v0
	v_mad_u64_u32 v[0:1], null, 0x308, v3, v[2:3]
	v_sub_nc_u32_e32 v4, v2, v4
	v_mul_lo_u32 v1, 0x310, v3
	v_add_nc_u32_e32 v5, 8, v4
	v_mov_b32_e32 v6, v0
.LBB5_1:                                ; =>This Loop Header: Depth=1
                                        ;     Child Loop BB5_2 Depth 2
	v_mad_u64_u32 v[2:3], null, 0x70, s24, v[1:2]
	s_mul_i32 s16, s24, 7
	s_mov_b32 s26, 0
	s_lshl_b64 s[4:5], s[16:17], 2
	s_add_u32 s22, s12, s4
	s_addc_u32 s23, s13, s5
	s_lshl_b32 s4, s16, 4
	v_add_nc_u32_e32 v7, v2, v4
	v_add3_u32 v3, s4, 16, v1
	v_add_nc_u32_e32 v2, v5, v2
	v_add3_u32 v15, s4, 32, v1
	v_add3_u32 v19, s4, 48, v1
	v_ashrrev_i32_e32 v8, 31, v7
	v_add_nc_u32_e32 v9, v3, v4
	v_add_nc_u32_e32 v11, v5, v3
	v_ashrrev_i32_e32 v3, 31, v2
	v_add_nc_u32_e32 v13, v15, v4
	v_lshlrev_b64 v[7:8], 2, v[7:8]
	v_ashrrev_i32_e32 v10, 31, v9
	v_add_nc_u32_e32 v15, v5, v15
	v_ashrrev_i32_e32 v12, 31, v11
	v_lshlrev_b64 v[2:3], 2, v[2:3]
	v_add_nc_u32_e32 v17, v19, v4
	v_ashrrev_i32_e32 v14, 31, v13
	v_lshlrev_b64 v[9:10], 2, v[9:10]
	v_add_nc_u32_e32 v19, v5, v19
	v_ashrrev_i32_e32 v16, 31, v15
	s_waitcnt lgkmcnt(0)
	v_add_co_u32 v7, vcc_lo, s0, v7
	v_lshlrev_b64 v[11:12], 2, v[11:12]
	v_ashrrev_i32_e32 v18, 31, v17
	v_add3_u32 v22, s4, 64, v1
	v_add_co_ci_u32_e64 v8, null, s1, v8, vcc_lo
	v_add_co_u32 v2, vcc_lo, s0, v2
	v_lshlrev_b64 v[13:14], 2, v[13:14]
	v_ashrrev_i32_e32 v20, 31, v19
	v_add_co_ci_u32_e64 v3, null, s1, v3, vcc_lo
	v_add_co_u32 v9, vcc_lo, s0, v9
	v_lshlrev_b64 v[15:16], 2, v[15:16]
	v_add_co_ci_u32_e64 v10, null, s1, v10, vcc_lo
	v_add_co_u32 v11, vcc_lo, s0, v11
	v_lshlrev_b64 v[17:18], 2, v[17:18]
	v_add_nc_u32_e32 v21, v22, v4
	v_add_co_ci_u32_e64 v12, null, s1, v12, vcc_lo
	v_add_co_u32 v13, vcc_lo, s0, v13
	v_lshlrev_b64 v[19:20], 2, v[19:20]
	v_add_nc_u32_e32 v23, v5, v22
	v_add_co_ci_u32_e64 v14, null, s1, v14, vcc_lo
	v_add_co_u32 v15, vcc_lo, s0, v15
	v_add3_u32 v27, 0x50, s4, v1
	v_ashrrev_i32_e32 v22, 31, v21
	v_add_co_ci_u32_e64 v16, null, s1, v16, vcc_lo
	v_add_co_u32 v17, vcc_lo, s0, v17
	v_ashrrev_i32_e32 v24, 31, v23
	v_add_co_ci_u32_e64 v18, null, s1, v18, vcc_lo
	v_add_co_u32 v19, vcc_lo, s0, v19
	v_add_co_ci_u32_e64 v20, null, s1, v20, vcc_lo
	v_add_nc_u32_e32 v25, v27, v4
	s_clause 0x7
	global_load_dword v7, v[7:8], off
	global_load_dword v8, v[2:3], off
	;; [unrolled: 1-line block ×8, first 2 shown]
	v_lshlrev_b64 v[2:3], 2, v[21:22]
	v_add_nc_u32_e32 v17, v5, v27
	v_lshlrev_b64 v[15:16], 2, v[23:24]
	v_add3_u32 v27, 0x60, s4, v1
	v_ashrrev_i32_e32 v26, 31, v25
	v_ashrrev_i32_e32 v18, 31, v17
	v_add_co_u32 v2, vcc_lo, s0, v2
	v_add_co_ci_u32_e64 v3, null, s1, v3, vcc_lo
	v_add_nc_u32_e32 v21, v27, v4
	v_add_co_u32 v23, vcc_lo, s0, v15
	v_lshlrev_b64 v[19:20], 2, v[25:26]
	v_add_co_ci_u32_e64 v24, null, s1, v16, vcc_lo
	v_lshlrev_b64 v[15:16], 2, v[17:18]
	v_add_nc_u32_e32 v17, v5, v27
	v_ashrrev_i32_e32 v22, 31, v21
	v_add_co_u32 v19, vcc_lo, s0, v19
	v_add_co_ci_u32_e64 v20, null, s1, v20, vcc_lo
	v_ashrrev_i32_e32 v18, 31, v17
	v_lshlrev_b64 v[21:22], 2, v[21:22]
	v_add_co_u32 v25, vcc_lo, s0, v15
	v_add_co_ci_u32_e64 v26, null, s1, v16, vcc_lo
	v_lshlrev_b64 v[15:16], 2, v[17:18]
	v_add_co_u32 v21, vcc_lo, s0, v21
	v_add_co_ci_u32_e64 v22, null, s1, v22, vcc_lo
	v_add_co_u32 v27, vcc_lo, s0, v15
	v_add_co_ci_u32_e64 v28, null, s1, v16, vcc_lo
	s_clause 0x5
	global_load_dword v15, v[2:3], off
	global_load_dword v16, v[23:24], off
	;; [unrolled: 1-line block ×6, first 2 shown]
	s_clause 0x5
	s_load_dwordx4 s[4:7], s[22:23], 0x0
	s_load_dwordx2 s[18:19], s[22:23], 0x10
	s_load_dword s16, s[22:23], 0x18
	s_load_dwordx4 s[8:11], s[22:23], 0xc4
	s_load_dwordx2 s[20:21], s[22:23], 0xd4
	s_load_dword s25, s[22:23], 0xdc
	s_mov_b64 s[22:23], s[14:15]
.LBB5_2:                                ;   Parent Loop BB5_1 Depth=1
                                        ; =>  This Inner Loop Header: Depth=2
	v_add_nc_u32_e32 v2, s26, v0
	v_add_nc_u32_e32 v21, s26, v6
	s_add_u32 s28, s22, 0xfffffe94
	s_addc_u32 s29, s23, -1
	s_add_u32 s30, s22, 0xffffff58
	v_add_nc_u32_e32 v22, 8, v2
	v_ashrrev_i32_e32 v3, 31, v2
	v_add_nc_u32_e32 v24, 0x70, v2
	v_add_nc_u32_e32 v26, 0x78, v2
	;; [unrolled: 1-line block ×3, first 2 shown]
	v_ashrrev_i32_e32 v23, 31, v22
	v_lshlrev_b64 v[43:44], 2, v[2:3]
	v_ashrrev_i32_e32 v25, 31, v24
	v_ashrrev_i32_e32 v27, 31, v26
	v_add_nc_u32_e32 v30, 0xe8, v2
	v_lshlrev_b64 v[22:23], 2, v[22:23]
	v_ashrrev_i32_e32 v29, 31, v28
	v_add_co_u32 v43, vcc_lo, s0, v43
	v_add_co_ci_u32_e64 v44, null, s1, v44, vcc_lo
	v_add_co_u32 v22, vcc_lo, s0, v22
	v_add_co_ci_u32_e64 v23, null, s1, v23, vcc_lo
	v_ashrrev_i32_e32 v31, 31, v30
	v_add_nc_u32_e32 v32, 0x150, v2
	s_clause 0x1
	global_load_dword v44, v[43:44], off
	global_load_dword v47, v[22:23], off
	v_lshlrev_b64 v[22:23], 2, v[24:25]
	v_lshlrev_b64 v[24:25], 2, v[26:27]
	v_add_nc_u32_e32 v34, 0x158, v2
	v_ashrrev_i32_e32 v33, 31, v32
	v_add_nc_u32_e32 v36, 0x1c0, v2
	v_add_nc_u32_e32 v38, 0x1c8, v2
	v_add_co_u32 v22, vcc_lo, s0, v22
	v_add_co_ci_u32_e64 v23, null, s1, v23, vcc_lo
	v_add_co_u32 v24, vcc_lo, s0, v24
	v_add_co_ci_u32_e64 v25, null, s1, v25, vcc_lo
	s_clause 0x1
	global_load_dword v26, v[22:23], off
	global_load_dword v27, v[24:25], off
	v_lshlrev_b64 v[22:23], 2, v[28:29]
	v_lshlrev_b64 v[24:25], 2, v[30:31]
	v_ashrrev_i32_e32 v35, 31, v34
	v_ashrrev_i32_e32 v37, 31, v36
	;; [unrolled: 1-line block ×3, first 2 shown]
	v_add_nc_u32_e32 v40, 0x230, v2
	v_add_co_u32 v22, vcc_lo, s0, v22
	v_add_co_ci_u32_e64 v23, null, s1, v23, vcc_lo
	v_add_co_u32 v24, vcc_lo, s0, v24
	v_add_co_ci_u32_e64 v25, null, s1, v25, vcc_lo
	s_clause 0x1
	global_load_dword v28, v[22:23], off
	global_load_dword v29, v[24:25], off
	v_lshlrev_b64 v[22:23], 2, v[32:33]
	v_lshlrev_b64 v[24:25], 2, v[34:35]
	v_add_nc_u32_e32 v42, 0x238, v2
	v_ashrrev_i32_e32 v41, 31, v40
	v_add_nc_u32_e32 v45, 0x2a0, v2
	v_add_nc_u32_e32 v2, 0x2a8, v2
	v_add_co_u32 v22, vcc_lo, s0, v22
	v_add_co_ci_u32_e64 v23, null, s1, v23, vcc_lo
	v_add_co_u32 v24, vcc_lo, s0, v24
	v_add_co_ci_u32_e64 v25, null, s1, v25, vcc_lo
	s_clause 0x1
	global_load_dword v30, v[22:23], off
	global_load_dword v31, v[24:25], off
	v_lshlrev_b64 v[22:23], 2, v[36:37]
	v_lshlrev_b64 v[24:25], 2, v[38:39]
	v_ashrrev_i32_e32 v43, 31, v42
	v_ashrrev_i32_e32 v46, 31, v45
	;; [unrolled: 1-line block ×3, first 2 shown]
	s_addc_u32 s31, s23, -1
	v_add_co_u32 v22, vcc_lo, s0, v22
	v_add_co_ci_u32_e64 v23, null, s1, v23, vcc_lo
	v_add_co_u32 v24, vcc_lo, s0, v24
	v_add_co_ci_u32_e64 v25, null, s1, v25, vcc_lo
	s_clause 0x1
	global_load_dword v32, v[22:23], off
	global_load_dword v33, v[24:25], off
	v_lshlrev_b64 v[22:23], 2, v[40:41]
	v_lshlrev_b64 v[24:25], 2, v[42:43]
	;; [unrolled: 1-line block ×3, first 2 shown]
	v_add_co_u32 v22, vcc_lo, s0, v22
	v_add_co_ci_u32_e64 v23, null, s1, v23, vcc_lo
	v_add_co_u32 v24, vcc_lo, s0, v24
	v_add_co_ci_u32_e64 v25, null, s1, v25, vcc_lo
	s_clause 0x1
	global_load_dword v34, v[22:23], off
	global_load_dword v35, v[24:25], off
	v_lshlrev_b64 v[22:23], 2, v[45:46]
	v_add_co_u32 v24, vcc_lo, s0, v22
	v_add_co_ci_u32_e64 v25, null, s1, v23, vcc_lo
	v_add_co_u32 v2, vcc_lo, s0, v2
	v_add_co_ci_u32_e64 v3, null, s1, v3, vcc_lo
	v_add_nc_u32_e32 v23, 8, v21
	v_ashrrev_i32_e32 v22, 31, v21
	s_clause 0x1
	global_load_dword v25, v[24:25], off
	global_load_dword v36, v[2:3], off
	v_ashrrev_i32_e32 v24, 31, v23
	v_lshlrev_b64 v[2:3], 2, v[21:22]
	v_lshlrev_b64 v[21:22], 2, v[23:24]
	v_add_co_u32 v2, vcc_lo, s2, v2
	v_add_co_ci_u32_e64 v3, null, s3, v3, vcc_lo
	v_add_co_u32 v21, vcc_lo, s2, v21
	v_add_co_ci_u32_e64 v22, null, s3, v22, vcc_lo
	s_clause 0x1
	global_load_dword v23, v[2:3], off
	global_load_dword v24, v[21:22], off
	s_clause 0x1
	s_load_dword s27, s[28:29], 0x0
	s_load_dword s33, s[30:31], 0x0
	s_add_u32 s28, s22, 0xfffffeb0
	s_addc_u32 s29, s23, -1
	s_add_u32 s30, s22, 0xffffff74
	s_addc_u32 s31, s23, -1
	s_clause 0x1
	s_load_dword s34, s[28:29], 0x0
	s_load_dword s35, s[30:31], 0x0
	s_add_u32 s28, s22, 0xfffffecc
	s_addc_u32 s29, s23, -1
	s_add_u32 s30, s22, 0xffffff90
	s_addc_u32 s31, s23, -1
	s_waitcnt vmcnt(15) lgkmcnt(0)
	v_fma_f32 v37, -s4, v44, 0
	s_waitcnt vmcnt(14)
	v_fma_f32 v38, s4, v47, 0
	v_fmac_f32_e32 v37, s27, v7
	v_fma_f32 v38, -v7, s33, v38
	v_fmac_f32_e32 v37, s8, v47
	v_fmac_f32_e32 v38, s8, v44
	v_fma_f32 v37, -v8, s33, v37
	v_fma_f32 v38, -s27, v8, v38
	s_clause 0x1
	s_load_dword s27, s[28:29], 0x0
	s_load_dword s33, s[30:31], 0x0
	s_add_u32 s28, s22, 0xfffffee8
	s_addc_u32 s29, s23, -1
	s_waitcnt vmcnt(13)
	v_fma_f32 v37, -s5, v26, v37
	s_waitcnt vmcnt(12)
	v_fmac_f32_e32 v38, s5, v27
	s_add_u32 s30, s22, 0xffffffac
	s_addc_u32 s31, s23, -1
	v_fmac_f32_e32 v37, s34, v9
	v_fma_f32 v38, -v9, s35, v38
	v_fmac_f32_e32 v37, s9, v27
	v_fmac_f32_e32 v38, s9, v26
	v_fma_f32 v26, -v10, s35, v37
	v_fma_f32 v27, -s34, v10, v38
	s_clause 0x1
	s_load_dword s34, s[28:29], 0x0
	s_load_dword s35, s[30:31], 0x0
	s_add_u32 s28, s22, 0xffffff04
	s_addc_u32 s29, s23, -1
	s_waitcnt vmcnt(11)
	v_fma_f32 v26, -s6, v28, v26
	s_waitcnt vmcnt(10)
	v_fmac_f32_e32 v27, s6, v29
	s_add_u32 s30, s22, 0xffffffc8
	s_addc_u32 s31, s23, -1
	s_waitcnt lgkmcnt(0)
	v_fmac_f32_e32 v26, s27, v11
	v_fma_f32 v27, -v11, s33, v27
	v_fmac_f32_e32 v26, s10, v29
	v_fmac_f32_e32 v27, s10, v28
	v_fma_f32 v26, -v12, s33, v26
	v_fma_f32 v27, -s27, v12, v27
	s_clause 0x1
	s_load_dword s27, s[28:29], 0x0
	s_load_dword s33, s[30:31], 0x0
	s_add_u32 s28, s22, 0xffffff20
	s_addc_u32 s29, s23, -1
	s_waitcnt vmcnt(9)
	v_fma_f32 v26, -s7, v30, v26
	s_waitcnt vmcnt(8)
	v_fmac_f32_e32 v27, s7, v31
	s_add_u32 s30, s22, 0xffffffe4
	s_addc_u32 s31, s23, -1
	v_fmac_f32_e32 v26, s34, v13
	v_fma_f32 v27, -v13, s35, v27
	v_fmac_f32_e32 v26, s11, v31
	v_fmac_f32_e32 v27, s11, v30
	v_fma_f32 v26, -v14, s35, v26
	v_fma_f32 v27, -s34, v14, v27
	s_clause 0x1
	s_load_dword s34, s[28:29], 0x0
	s_load_dword s30, s[30:31], 0x0
	s_add_u32 s28, s22, 0xffffff3c
	s_addc_u32 s29, s23, -1
	s_waitcnt vmcnt(7)
	v_fma_f32 v26, -s18, v32, v26
	s_waitcnt vmcnt(6)
	v_fmac_f32_e32 v27, s18, v33
	s_add_i32 s26, s26, 16
	s_load_dword s28, s[28:29], 0x0
	s_waitcnt lgkmcnt(0)
	v_fmac_f32_e32 v26, s27, v15
	v_fma_f32 v27, -v15, s33, v27
	v_fmac_f32_e32 v26, s20, v33
	v_fmac_f32_e32 v27, s20, v32
	v_fma_f32 v26, -v16, s33, v26
	v_fma_f32 v27, -s27, v16, v27
	s_load_dword s27, s[22:23], 0x0
	s_add_u32 s22, s22, 4
	s_addc_u32 s23, s23, 0
	s_waitcnt vmcnt(5)
	v_fma_f32 v26, -s19, v34, v26
	s_waitcnt vmcnt(4)
	v_fmac_f32_e32 v27, s19, v35
	s_cmpk_lg_i32 s26, 0x70
	v_fmac_f32_e32 v26, s34, v17
	v_fma_f32 v27, -v17, s30, v27
	v_fmac_f32_e32 v26, s21, v35
	v_fmac_f32_e32 v27, s21, v34
	v_fma_f32 v26, -v18, s30, v26
	v_fma_f32 v27, -s34, v18, v27
	s_waitcnt vmcnt(3)
	v_fma_f32 v26, -s16, v25, v26
	s_waitcnt vmcnt(2)
	v_fmac_f32_e32 v27, s16, v36
	v_fmac_f32_e32 v26, s28, v19
	s_waitcnt lgkmcnt(0)
	v_fma_f32 v27, -v19, s27, v27
	v_fmac_f32_e32 v26, s25, v36
	v_fmac_f32_e32 v27, s25, v25
	v_fma_f32 v25, -v20, s27, v26
	v_fma_f32 v26, -s28, v20, v27
	s_waitcnt vmcnt(0)
	v_add_f32_e32 v24, v25, v24
	v_add_f32_e32 v23, v26, v23
	global_store_dword v[21:22], v24, off
	global_store_dword v[2:3], v23, off
	s_cbranch_scc1 .LBB5_2
; %bb.3:                                ;   in Loop: Header=BB5_1 Depth=1
	v_add_nc_u32_e32 v6, 0x70, v6
	s_add_i32 s24, s24, 1
	s_cmp_eq_u32 s24, 7
	s_cbranch_scc0 .LBB5_1
; %bb.4:
	s_endpgm
	.section	.rodata,"a",@progbits
	.p2align	6, 0x0
	.amdhsa_kernel _Z26comm_aosoa_naive_constantsPK15HIP_vector_typeIfLj2EEPS0_S2_i
		.amdhsa_group_segment_fixed_size 0
		.amdhsa_private_segment_fixed_size 0
		.amdhsa_kernarg_size 288
		.amdhsa_user_sgpr_count 6
		.amdhsa_user_sgpr_private_segment_buffer 1
		.amdhsa_user_sgpr_dispatch_ptr 0
		.amdhsa_user_sgpr_queue_ptr 0
		.amdhsa_user_sgpr_kernarg_segment_ptr 1
		.amdhsa_user_sgpr_dispatch_id 0
		.amdhsa_user_sgpr_flat_scratch_init 0
		.amdhsa_user_sgpr_private_segment_size 0
		.amdhsa_wavefront_size32 1
		.amdhsa_uses_dynamic_stack 0
		.amdhsa_system_sgpr_private_segment_wavefront_offset 0
		.amdhsa_system_sgpr_workgroup_id_x 1
		.amdhsa_system_sgpr_workgroup_id_y 0
		.amdhsa_system_sgpr_workgroup_id_z 0
		.amdhsa_system_sgpr_workgroup_info 0
		.amdhsa_system_vgpr_workitem_id 0
		.amdhsa_next_free_vgpr 48
		.amdhsa_next_free_sgpr 36
		.amdhsa_reserve_vcc 1
		.amdhsa_reserve_flat_scratch 0
		.amdhsa_float_round_mode_32 0
		.amdhsa_float_round_mode_16_64 0
		.amdhsa_float_denorm_mode_32 3
		.amdhsa_float_denorm_mode_16_64 3
		.amdhsa_dx10_clamp 1
		.amdhsa_ieee_mode 1
		.amdhsa_fp16_overflow 0
		.amdhsa_workgroup_processor_mode 1
		.amdhsa_memory_ordered 1
		.amdhsa_forward_progress 1
		.amdhsa_shared_vgpr_count 0
		.amdhsa_exception_fp_ieee_invalid_op 0
		.amdhsa_exception_fp_denorm_src 0
		.amdhsa_exception_fp_ieee_div_zero 0
		.amdhsa_exception_fp_ieee_overflow 0
		.amdhsa_exception_fp_ieee_underflow 0
		.amdhsa_exception_fp_ieee_inexact 0
		.amdhsa_exception_int_div_zero 0
	.end_amdhsa_kernel
	.text
.Lfunc_end5:
	.size	_Z26comm_aosoa_naive_constantsPK15HIP_vector_typeIfLj2EEPS0_S2_i, .Lfunc_end5-_Z26comm_aosoa_naive_constantsPK15HIP_vector_typeIfLj2EEPS0_S2_i
                                        ; -- End function
	.set _Z26comm_aosoa_naive_constantsPK15HIP_vector_typeIfLj2EEPS0_S2_i.num_vgpr, 48
	.set _Z26comm_aosoa_naive_constantsPK15HIP_vector_typeIfLj2EEPS0_S2_i.num_agpr, 0
	.set _Z26comm_aosoa_naive_constantsPK15HIP_vector_typeIfLj2EEPS0_S2_i.numbered_sgpr, 36
	.set _Z26comm_aosoa_naive_constantsPK15HIP_vector_typeIfLj2EEPS0_S2_i.num_named_barrier, 0
	.set _Z26comm_aosoa_naive_constantsPK15HIP_vector_typeIfLj2EEPS0_S2_i.private_seg_size, 0
	.set _Z26comm_aosoa_naive_constantsPK15HIP_vector_typeIfLj2EEPS0_S2_i.uses_vcc, 1
	.set _Z26comm_aosoa_naive_constantsPK15HIP_vector_typeIfLj2EEPS0_S2_i.uses_flat_scratch, 0
	.set _Z26comm_aosoa_naive_constantsPK15HIP_vector_typeIfLj2EEPS0_S2_i.has_dyn_sized_stack, 0
	.set _Z26comm_aosoa_naive_constantsPK15HIP_vector_typeIfLj2EEPS0_S2_i.has_recursion, 0
	.set _Z26comm_aosoa_naive_constantsPK15HIP_vector_typeIfLj2EEPS0_S2_i.has_indirect_call, 0
	.section	.AMDGPU.csdata,"",@progbits
; Kernel info:
; codeLenInByte = 2336
; TotalNumSgprs: 38
; NumVgprs: 48
; ScratchSize: 0
; MemoryBound: 0
; FloatMode: 240
; IeeeMode: 1
; LDSByteSize: 0 bytes/workgroup (compile time only)
; SGPRBlocks: 0
; VGPRBlocks: 5
; NumSGPRsForWavesPerEU: 38
; NumVGPRsForWavesPerEU: 48
; Occupancy: 16
; WaveLimiterHint : 0
; COMPUTE_PGM_RSRC2:SCRATCH_EN: 0
; COMPUTE_PGM_RSRC2:USER_SGPR: 6
; COMPUTE_PGM_RSRC2:TRAP_HANDLER: 0
; COMPUTE_PGM_RSRC2:TGID_X_EN: 1
; COMPUTE_PGM_RSRC2:TGID_Y_EN: 0
; COMPUTE_PGM_RSRC2:TGID_Z_EN: 0
; COMPUTE_PGM_RSRC2:TIDIG_COMP_CNT: 0
	.text
	.protected	_Z31comm_aosoa_naive_constants_permPK15HIP_vector_typeIfLj2EEPS0_S2_ ; -- Begin function _Z31comm_aosoa_naive_constants_permPK15HIP_vector_typeIfLj2EEPS0_S2_
	.globl	_Z31comm_aosoa_naive_constants_permPK15HIP_vector_typeIfLj2EEPS0_S2_
	.p2align	8
	.type	_Z31comm_aosoa_naive_constants_permPK15HIP_vector_typeIfLj2EEPS0_S2_,@function
_Z31comm_aosoa_naive_constants_permPK15HIP_vector_typeIfLj2EEPS0_S2_: ; @_Z31comm_aosoa_naive_constants_permPK15HIP_vector_typeIfLj2EEPS0_S2_
; %bb.0:
	s_load_dword s0, s[4:5], 0x24
	s_mov_b64 s[14:15], 0xc4
	s_mov_b32 s24, 0
	s_waitcnt lgkmcnt(0)
	s_and_b32 s0, s0, 0xffff
	v_mad_u64_u32 v[0:1], null, s6, s0, v[0:1]
	s_clause 0x1
	s_load_dwordx4 s[0:3], s[4:5], 0x0
	s_load_dwordx2 s[12:13], s[4:5], 0x10
	v_ashrrev_i32_e32 v1, 31, v0
	v_mov_b32_e32 v35, v0
	v_lshrrev_b32_e32 v1, 29, v1
	v_add_nc_u32_e32 v1, v0, v1
	v_and_b32_e32 v2, -8, v1
	v_ashrrev_i32_e32 v3, 3, v1
	v_sub_nc_u32_e32 v32, v0, v2
	v_mul_lo_u32 v1, 0x310, v3
	v_mul_lo_u32 v33, 0x308, v3
	v_add_nc_u32_e32 v34, 8, v32
.LBB6_1:                                ; =>This Loop Header: Depth=1
                                        ;     Child Loop BB6_2 Depth 2
	v_mad_u64_u32 v[18:19], null, 0x70, s24, v[1:2]
	v_mov_b32_e32 v36, v35
	v_mov_b32_e32 v37, v0
	s_mov_b64 s[16:17], 0
	s_mov_b64 s[18:19], s[14:15]
	v_add_nc_u32_e32 v5, 16, v18
	v_add_nc_u32_e32 v2, v18, v32
	;; [unrolled: 1-line block ×6, first 2 shown]
	v_ashrrev_i32_e32 v3, 31, v2
	v_add_nc_u32_e32 v8, v34, v5
	v_ashrrev_i32_e32 v5, 31, v4
	v_add_nc_u32_e32 v10, v7, v32
	v_add_nc_u32_e32 v12, v34, v7
	v_ashrrev_i32_e32 v7, 31, v6
	v_lshlrev_b64 v[2:3], 2, v[2:3]
	v_ashrrev_i32_e32 v9, 31, v8
	v_add_nc_u32_e32 v20, 64, v18
	v_lshlrev_b64 v[4:5], 2, v[4:5]
	v_add_nc_u32_e32 v14, v15, v32
	v_ashrrev_i32_e32 v11, 31, v10
	v_lshlrev_b64 v[6:7], 2, v[6:7]
	v_add_nc_u32_e32 v16, v34, v15
	v_ashrrev_i32_e32 v13, 31, v12
	v_add_nc_u32_e32 v25, 0x50, v18
	v_lshlrev_b64 v[8:9], 2, v[8:9]
	s_waitcnt lgkmcnt(0)
	v_add_co_u32 v2, vcc_lo, s2, v2
	v_add_nc_u32_e32 v19, v20, v32
	v_ashrrev_i32_e32 v15, 31, v14
	v_add_co_ci_u32_e64 v3, null, s3, v3, vcc_lo
	v_add_co_u32 v4, vcc_lo, s2, v4
	v_lshlrev_b64 v[10:11], 2, v[10:11]
	v_add_nc_u32_e32 v21, v34, v20
	v_ashrrev_i32_e32 v17, 31, v16
	v_add_nc_u32_e32 v29, 0x60, v18
	v_add_co_ci_u32_e64 v5, null, s3, v5, vcc_lo
	v_add_co_u32 v6, vcc_lo, s2, v6
	v_lshlrev_b64 v[12:13], 2, v[12:13]
	v_add_nc_u32_e32 v23, v25, v32
	v_ashrrev_i32_e32 v20, 31, v19
	v_add_co_ci_u32_e64 v7, null, s3, v7, vcc_lo
	v_add_co_u32 v8, vcc_lo, s2, v8
	v_lshlrev_b64 v[14:15], 2, v[14:15]
	v_add_nc_u32_e32 v25, v34, v25
	v_ashrrev_i32_e32 v22, 31, v21
	;; [unrolled: 5-line block ×4, first 2 shown]
	v_add_co_ci_u32_e64 v13, null, s3, v13, vcc_lo
	v_add_co_u32 v14, vcc_lo, s2, v14
	v_lshlrev_b64 v[21:22], 2, v[21:22]
	v_ashrrev_i32_e32 v28, 31, v27
	v_add_co_ci_u32_e64 v15, null, s3, v15, vcc_lo
	v_add_co_u32 v16, vcc_lo, s2, v16
	v_lshlrev_b64 v[23:24], 2, v[23:24]
	v_ashrrev_i32_e32 v30, 31, v29
	v_add_co_ci_u32_e64 v17, null, s3, v17, vcc_lo
	v_add_co_u32 v18, vcc_lo, s2, v19
	v_lshlrev_b64 v[25:26], 2, v[25:26]
	v_add_co_ci_u32_e64 v19, null, s3, v20, vcc_lo
	v_add_co_u32 v20, vcc_lo, s2, v21
	v_lshlrev_b64 v[27:28], 2, v[27:28]
	;; [unrolled: 3-line block ×3, first 2 shown]
	v_add_co_ci_u32_e64 v23, null, s3, v24, vcc_lo
	v_add_co_u32 v24, vcc_lo, s2, v25
	v_add_co_ci_u32_e64 v25, null, s3, v26, vcc_lo
	v_add_co_u32 v26, vcc_lo, s2, v27
	;; [unrolled: 2-line block ×3, first 2 shown]
	v_add_co_ci_u32_e64 v29, null, s3, v30, vcc_lo
.LBB6_2:                                ;   Parent Loop BB6_1 Depth=1
                                        ; =>  This Inner Loop Header: Depth=2
	v_add_nc_u32_e32 v38, v33, v36
	v_add_nc_u32_e32 v30, v33, v37
	s_clause 0x1
	global_load_dword v53, v[2:3], off
	global_load_dword v54, v[4:5], off
	s_add_u32 s4, s12, s18
	s_addc_u32 s5, s13, s19
	v_ashrrev_i32_e32 v39, 31, v38
	v_add_nc_u32_e32 v42, 8, v30
	v_add_nc_u32_e32 v40, 8, v38
	v_ashrrev_i32_e32 v31, 31, v30
	s_add_u32 s6, s4, 0xffffff3c
	v_lshlrev_b64 v[38:39], 2, v[38:39]
	v_ashrrev_i32_e32 v43, 31, v42
	v_ashrrev_i32_e32 v41, 31, v40
	v_lshlrev_b64 v[44:45], 2, v[30:31]
	s_addc_u32 s7, s5, -1
	v_add_nc_u32_e32 v47, 48, v30
	v_lshlrev_b64 v[42:43], 2, v[42:43]
	v_add_co_u32 v38, vcc_lo, s0, v38
	v_lshlrev_b64 v[40:41], 2, v[40:41]
	v_add_co_ci_u32_e64 v39, null, s1, v39, vcc_lo
	v_add_co_u32 v44, vcc_lo, s0, v44
	v_add_co_ci_u32_e64 v45, null, s1, v45, vcc_lo
	v_add_co_u32 v42, vcc_lo, s0, v42
	global_load_dword v38, v[38:39], off
	v_add_co_ci_u32_e64 v43, null, s1, v43, vcc_lo
	v_add_co_u32 v39, vcc_lo, s0, v40
	v_add_co_ci_u32_e64 v40, null, s1, v41, vcc_lo
	s_clause 0x2
	global_load_dword v55, v[42:43], off
	global_load_dword v56, v[44:45], off
	;; [unrolled: 1-line block ×3, first 2 shown]
	v_add_nc_u32_e32 v39, 16, v30
	v_add_nc_u32_e32 v41, 24, v30
	;; [unrolled: 1-line block ×4, first 2 shown]
	s_clause 0x1
	s_load_dword s26, s[6:7], 0x0
	s_load_dword s25, s[4:5], 0x0
	v_ashrrev_i32_e32 v40, 31, v39
	v_ashrrev_i32_e32 v42, 31, v41
	;; [unrolled: 1-line block ×3, first 2 shown]
	v_add_nc_u32_e32 v49, 56, v30
	s_add_u32 s20, s12, s16
	v_lshlrev_b64 v[39:40], 2, v[39:40]
	v_ashrrev_i32_e32 v46, 31, v45
	s_addc_u32 s21, s13, s17
	v_add_nc_u32_e32 v51, 64, v30
	v_lshlrev_b64 v[41:42], 2, v[41:42]
	v_ashrrev_i32_e32 v48, 31, v47
	s_clause 0x3
	s_load_dwordx4 s[4:7], s[20:21], 0x0
	s_load_dwordx2 s[22:23], s[20:21], 0x10
	s_load_dword s27, s[20:21], 0x18
	s_load_dwordx4 s[8:11], s[20:21], 0xc4
	v_lshlrev_b64 v[43:44], 2, v[43:44]
	v_ashrrev_i32_e32 v50, 31, v49
	v_lshlrev_b64 v[45:46], 2, v[45:46]
	v_add_co_u32 v39, vcc_lo, s0, v39
	v_ashrrev_i32_e32 v52, 31, v51
	v_lshlrev_b64 v[47:48], 2, v[47:48]
	v_add_co_ci_u32_e64 v40, null, s1, v40, vcc_lo
	v_add_co_u32 v41, vcc_lo, s0, v41
	v_lshlrev_b64 v[49:50], 2, v[49:50]
	v_add_co_ci_u32_e64 v42, null, s1, v42, vcc_lo
	v_add_co_u32 v43, vcc_lo, s0, v43
	;; [unrolled: 3-line block ×3, first 2 shown]
	v_add_co_ci_u32_e64 v46, null, s1, v46, vcc_lo
	v_add_co_u32 v47, vcc_lo, s0, v47
	v_add_co_ci_u32_e64 v48, null, s1, v48, vcc_lo
	v_add_co_u32 v49, vcc_lo, s0, v49
	;; [unrolled: 2-line block ×3, first 2 shown]
	v_add_co_ci_u32_e64 v52, null, s1, v52, vcc_lo
	s_clause 0x6
	global_load_dword v39, v[39:40], off
	global_load_dword v40, v[41:42], off
	;; [unrolled: 1-line block ×7, first 2 shown]
	s_add_u32 s18, s18, 4
	v_add_nc_u32_e32 v37, 0x70, v37
	v_add_nc_u32_e32 v36, 16, v36
	s_addc_u32 s19, s19, 0
	s_add_u32 s16, s16, 28
	s_addc_u32 s17, s17, 0
	s_cmpk_eq_i32 s16, 0xc4
	s_waitcnt vmcnt(9) lgkmcnt(0)
	v_fmac_f32_e32 v53, s26, v55
	s_waitcnt vmcnt(8)
	v_fma_f32 v45, -s26, v56, v54
	v_fma_f32 v46, -v38, s8, v53
	v_fmac_f32_e32 v45, s4, v38
	v_fmac_f32_e32 v46, s25, v56
	v_fmac_f32_e32 v45, s25, v55
	s_waitcnt vmcnt(7)
	v_fma_f32 v46, -v31, s4, v46
	v_fma_f32 v45, -v31, s8, v45
	global_store_dword v[2:3], v46, off
	global_store_dword v[4:5], v45, off
	s_clause 0x1
	global_load_dword v45, v[6:7], off
	global_load_dword v46, v[8:9], off
	s_waitcnt vmcnt(1)
	v_fmac_f32_e32 v45, s26, v40
	s_waitcnt vmcnt(0)
	v_fma_f32 v46, -s26, v39, v46
	v_fma_f32 v45, -v38, s9, v45
	v_fmac_f32_e32 v46, s5, v38
	v_fmac_f32_e32 v45, s25, v39
	;; [unrolled: 1-line block ×3, first 2 shown]
	v_fma_f32 v39, -v31, s5, v45
	v_fma_f32 v40, -v31, s9, v46
	global_store_dword v[6:7], v39, off
	global_store_dword v[8:9], v40, off
	s_clause 0x1
	global_load_dword v39, v[10:11], off
	global_load_dword v40, v[12:13], off
	v_add_nc_u32_e32 v45, 0x68, v30
	v_ashrrev_i32_e32 v46, 31, v45
	v_lshlrev_b64 v[45:46], 2, v[45:46]
	s_waitcnt vmcnt(1)
	v_fmac_f32_e32 v39, s26, v42
	s_waitcnt vmcnt(0)
	v_fma_f32 v40, -s26, v41, v40
	v_fma_f32 v39, -v38, s10, v39
	v_fmac_f32_e32 v40, s6, v38
	v_fmac_f32_e32 v39, s25, v41
	;; [unrolled: 1-line block ×3, first 2 shown]
	v_fma_f32 v39, -v31, s6, v39
	v_fma_f32 v40, -v31, s10, v40
	global_store_dword v[10:11], v39, off
	global_store_dword v[12:13], v40, off
	s_clause 0x1
	global_load_dword v41, v[14:15], off
	global_load_dword v42, v[16:17], off
	v_add_nc_u32_e32 v39, 0x48, v30
	v_ashrrev_i32_e32 v40, 31, v39
	v_lshlrev_b64 v[39:40], 2, v[39:40]
	v_add_co_u32 v39, vcc_lo, s0, v39
	v_add_co_ci_u32_e64 v40, null, s1, v40, vcc_lo
	global_load_dword v48, v[39:40], off
	s_waitcnt vmcnt(2)
	v_fmac_f32_e32 v41, s26, v44
	s_waitcnt vmcnt(1)
	v_fma_f32 v39, -s26, v43, v42
	v_fma_f32 v40, -v38, s11, v41
	v_fmac_f32_e32 v39, s7, v38
	v_add_nc_u32_e32 v41, 0x58, v30
	v_fmac_f32_e32 v40, s25, v43
	v_fmac_f32_e32 v39, s25, v44
	v_add_nc_u32_e32 v43, 0x60, v30
	v_ashrrev_i32_e32 v42, 31, v41
	v_fma_f32 v40, -v31, s7, v40
	v_fma_f32 v39, -v31, s11, v39
	global_store_dword v[14:15], v40, off
	global_store_dword v[16:17], v39, off
	s_clause 0x1
	global_load_dword v49, v[18:19], off
	global_load_dword v50, v[20:21], off
	v_add_nc_u32_e32 v39, 0x50, v30
	v_ashrrev_i32_e32 v44, 31, v43
	s_clause 0x1
	s_load_dword s6, s[20:21], 0xdc
	s_load_dwordx2 s[4:5], s[20:21], 0xd4
	v_lshlrev_b64 v[41:42], 2, v[41:42]
	v_ashrrev_i32_e32 v40, 31, v39
	v_lshlrev_b64 v[43:44], 2, v[43:44]
	v_lshlrev_b64 v[39:40], 2, v[39:40]
	v_add_co_u32 v39, vcc_lo, s0, v39
	v_add_co_ci_u32_e64 v40, null, s1, v40, vcc_lo
	v_add_co_u32 v41, vcc_lo, s0, v41
	v_add_co_ci_u32_e64 v42, null, s1, v42, vcc_lo
	;; [unrolled: 2-line block ×4, first 2 shown]
	s_clause 0x3
	global_load_dword v30, v[39:40], off
	global_load_dword v39, v[41:42], off
	;; [unrolled: 1-line block ×4, first 2 shown]
	s_waitcnt vmcnt(5)
	v_fmac_f32_e32 v49, s26, v48
	s_waitcnt vmcnt(4)
	v_fma_f32 v42, -s26, v47, v50
	s_waitcnt lgkmcnt(0)
	v_fma_f32 v43, -v38, s4, v49
	v_fmac_f32_e32 v42, s22, v38
	v_fmac_f32_e32 v43, s25, v47
	v_fmac_f32_e32 v42, s25, v48
	v_fma_f32 v43, -v31, s22, v43
	v_fma_f32 v42, -v31, s4, v42
	global_store_dword v[18:19], v43, off
	global_store_dword v[20:21], v42, off
	s_clause 0x1
	global_load_dword v42, v[22:23], off
	global_load_dword v43, v[24:25], off
	s_waitcnt vmcnt(1)
	v_fmac_f32_e32 v42, s26, v39
	s_waitcnt vmcnt(0)
	v_fma_f32 v43, -s26, v30, v43
	v_fma_f32 v42, -v38, s5, v42
	v_fmac_f32_e32 v43, s23, v38
	v_fmac_f32_e32 v42, s25, v30
	;; [unrolled: 1-line block ×3, first 2 shown]
	v_fma_f32 v30, -v31, s23, v42
	v_fma_f32 v39, -v31, s5, v43
	global_store_dword v[22:23], v30, off
	global_store_dword v[24:25], v39, off
	s_clause 0x1
	global_load_dword v30, v[26:27], off
	global_load_dword v39, v[28:29], off
	s_waitcnt vmcnt(1)
	v_fmac_f32_e32 v30, s26, v41
	s_waitcnt vmcnt(0)
	v_fma_f32 v39, -s26, v40, v39
	v_fma_f32 v30, -v38, s6, v30
	v_fmac_f32_e32 v39, s27, v38
	v_fmac_f32_e32 v30, s25, v40
	;; [unrolled: 1-line block ×3, first 2 shown]
	v_fma_f32 v30, -v31, s27, v30
	v_fma_f32 v31, -v31, s6, v39
	global_store_dword v[26:27], v30, off
	global_store_dword v[28:29], v31, off
	s_cbranch_scc0 .LBB6_2
; %bb.3:                                ;   in Loop: Header=BB6_1 Depth=1
	s_add_i32 s24, s24, 1
	v_add_nc_u32_e32 v35, 0x70, v35
	s_add_u32 s14, s14, 28
	s_addc_u32 s15, s15, 0
	s_cmp_eq_u32 s24, 7
	s_cbranch_scc0 .LBB6_1
; %bb.4:
	s_endpgm
	.section	.rodata,"a",@progbits
	.p2align	6, 0x0
	.amdhsa_kernel _Z31comm_aosoa_naive_constants_permPK15HIP_vector_typeIfLj2EEPS0_S2_
		.amdhsa_group_segment_fixed_size 0
		.amdhsa_private_segment_fixed_size 0
		.amdhsa_kernarg_size 280
		.amdhsa_user_sgpr_count 6
		.amdhsa_user_sgpr_private_segment_buffer 1
		.amdhsa_user_sgpr_dispatch_ptr 0
		.amdhsa_user_sgpr_queue_ptr 0
		.amdhsa_user_sgpr_kernarg_segment_ptr 1
		.amdhsa_user_sgpr_dispatch_id 0
		.amdhsa_user_sgpr_flat_scratch_init 0
		.amdhsa_user_sgpr_private_segment_size 0
		.amdhsa_wavefront_size32 1
		.amdhsa_uses_dynamic_stack 0
		.amdhsa_system_sgpr_private_segment_wavefront_offset 0
		.amdhsa_system_sgpr_workgroup_id_x 1
		.amdhsa_system_sgpr_workgroup_id_y 0
		.amdhsa_system_sgpr_workgroup_id_z 0
		.amdhsa_system_sgpr_workgroup_info 0
		.amdhsa_system_vgpr_workitem_id 0
		.amdhsa_next_free_vgpr 57
		.amdhsa_next_free_sgpr 28
		.amdhsa_reserve_vcc 1
		.amdhsa_reserve_flat_scratch 0
		.amdhsa_float_round_mode_32 0
		.amdhsa_float_round_mode_16_64 0
		.amdhsa_float_denorm_mode_32 3
		.amdhsa_float_denorm_mode_16_64 3
		.amdhsa_dx10_clamp 1
		.amdhsa_ieee_mode 1
		.amdhsa_fp16_overflow 0
		.amdhsa_workgroup_processor_mode 1
		.amdhsa_memory_ordered 1
		.amdhsa_forward_progress 1
		.amdhsa_shared_vgpr_count 0
		.amdhsa_exception_fp_ieee_invalid_op 0
		.amdhsa_exception_fp_denorm_src 0
		.amdhsa_exception_fp_ieee_div_zero 0
		.amdhsa_exception_fp_ieee_overflow 0
		.amdhsa_exception_fp_ieee_underflow 0
		.amdhsa_exception_fp_ieee_inexact 0
		.amdhsa_exception_int_div_zero 0
	.end_amdhsa_kernel
	.text
.Lfunc_end6:
	.size	_Z31comm_aosoa_naive_constants_permPK15HIP_vector_typeIfLj2EEPS0_S2_, .Lfunc_end6-_Z31comm_aosoa_naive_constants_permPK15HIP_vector_typeIfLj2EEPS0_S2_
                                        ; -- End function
	.set _Z31comm_aosoa_naive_constants_permPK15HIP_vector_typeIfLj2EEPS0_S2_.num_vgpr, 57
	.set _Z31comm_aosoa_naive_constants_permPK15HIP_vector_typeIfLj2EEPS0_S2_.num_agpr, 0
	.set _Z31comm_aosoa_naive_constants_permPK15HIP_vector_typeIfLj2EEPS0_S2_.numbered_sgpr, 28
	.set _Z31comm_aosoa_naive_constants_permPK15HIP_vector_typeIfLj2EEPS0_S2_.num_named_barrier, 0
	.set _Z31comm_aosoa_naive_constants_permPK15HIP_vector_typeIfLj2EEPS0_S2_.private_seg_size, 0
	.set _Z31comm_aosoa_naive_constants_permPK15HIP_vector_typeIfLj2EEPS0_S2_.uses_vcc, 1
	.set _Z31comm_aosoa_naive_constants_permPK15HIP_vector_typeIfLj2EEPS0_S2_.uses_flat_scratch, 0
	.set _Z31comm_aosoa_naive_constants_permPK15HIP_vector_typeIfLj2EEPS0_S2_.has_dyn_sized_stack, 0
	.set _Z31comm_aosoa_naive_constants_permPK15HIP_vector_typeIfLj2EEPS0_S2_.has_recursion, 0
	.set _Z31comm_aosoa_naive_constants_permPK15HIP_vector_typeIfLj2EEPS0_S2_.has_indirect_call, 0
	.section	.AMDGPU.csdata,"",@progbits
; Kernel info:
; codeLenInByte = 2124
; TotalNumSgprs: 30
; NumVgprs: 57
; ScratchSize: 0
; MemoryBound: 0
; FloatMode: 240
; IeeeMode: 1
; LDSByteSize: 0 bytes/workgroup (compile time only)
; SGPRBlocks: 0
; VGPRBlocks: 7
; NumSGPRsForWavesPerEU: 30
; NumVGPRsForWavesPerEU: 57
; Occupancy: 16
; WaveLimiterHint : 1
; COMPUTE_PGM_RSRC2:SCRATCH_EN: 0
; COMPUTE_PGM_RSRC2:USER_SGPR: 6
; COMPUTE_PGM_RSRC2:TRAP_HANDLER: 0
; COMPUTE_PGM_RSRC2:TGID_X_EN: 1
; COMPUTE_PGM_RSRC2:TGID_Y_EN: 0
; COMPUTE_PGM_RSRC2:TGID_Z_EN: 0
; COMPUTE_PGM_RSRC2:TIDIG_COMP_CNT: 0
	.text
	.protected	_Z23comm_aosoa_naive_directPK15HIP_vector_typeIfLj2EEPS0_S2_i ; -- Begin function _Z23comm_aosoa_naive_directPK15HIP_vector_typeIfLj2EEPS0_S2_i
	.globl	_Z23comm_aosoa_naive_directPK15HIP_vector_typeIfLj2EEPS0_S2_i
	.p2align	8
	.type	_Z23comm_aosoa_naive_directPK15HIP_vector_typeIfLj2EEPS0_S2_i,@function
_Z23comm_aosoa_naive_directPK15HIP_vector_typeIfLj2EEPS0_S2_i: ; @_Z23comm_aosoa_naive_directPK15HIP_vector_typeIfLj2EEPS0_S2_i
; %bb.0:
	s_load_dword s8, s[4:5], 0x18
	s_waitcnt lgkmcnt(0)
	s_cmp_lt_i32 s8, 1
	s_cbranch_scc1 .LBB7_7
; %bb.1:
	s_load_dword s0, s[4:5], 0x2c
	s_mul_i32 s23, s8, s8
	s_lshl_b32 s22, s8, 4
	s_lshl_b32 s10, s23, 4
	s_mov_b32 s24, 0
	s_add_i32 s10, s10, -8
	s_waitcnt lgkmcnt(0)
	s_and_b32 s0, s0, 0xffff
	v_mad_u64_u32 v[0:1], null, s6, s0, v[0:1]
	s_clause 0x1
	s_load_dwordx2 s[6:7], s[4:5], 0x10
	s_load_dwordx4 s[0:3], s[4:5], 0x0
	s_mul_i32 s4, s22, s8
	s_mov_b32 s5, 0
	s_mov_b32 s9, s5
	v_ashrrev_i32_e32 v1, 31, v0
	v_mov_b32_e32 v9, v0
	v_lshrrev_b32_e32 v1, 29, v1
	v_add_nc_u32_e32 v1, v0, v1
	s_waitcnt lgkmcnt(0)
	s_mov_b64 s[12:13], s[6:7]
	v_and_b32_e32 v2, -8, v1
	v_ashrrev_i32_e32 v1, 3, v1
	v_sub_nc_u32_e32 v5, v0, v2
	v_mul_lo_u32 v6, s4, v1
	v_mul_lo_u32 v7, v1, s10
	s_lshl_b64 s[10:11], s[8:9], 2
	s_mov_b32 s9, s23
	v_add_nc_u32_e32 v8, 8, v5
.LBB7_2:                                ; =>This Loop Header: Depth=1
                                        ;     Child Loop BB7_3 Depth 2
                                        ;       Child Loop BB7_4 Depth 3
	v_mov_b32_e32 v10, v0
	s_mul_i32 s25, s24, s8
	s_mov_b64 s[14:15], s[6:7]
	s_mov_b32 s26, s23
	s_mov_b32 s27, s5
.LBB7_3:                                ;   Parent Loop BB7_2 Depth=1
                                        ; =>  This Loop Header: Depth=2
                                        ;       Child Loop BB7_4 Depth 3
	s_add_i32 s4, s27, s25
	v_mov_b32_e32 v12, v9
	v_lshl_add_u32 v2, s4, 4, v6
	v_mov_b32_e32 v13, v10
	s_mov_b32 s28, 0
	s_mov_b64 s[16:17], s[12:13]
	s_mov_b64 s[18:19], s[14:15]
	v_add_nc_u32_e32 v1, v8, v2
	v_add_nc_u32_e32 v3, v2, v5
	s_mov_b32 s20, s26
	v_ashrrev_i32_e32 v2, 31, v1
	v_ashrrev_i32_e32 v4, 31, v3
	v_lshlrev_b64 v[1:2], 2, v[1:2]
	v_lshlrev_b64 v[3:4], 2, v[3:4]
	v_add_co_u32 v1, vcc_lo, s2, v1
	v_add_co_ci_u32_e64 v2, null, s3, v2, vcc_lo
	v_add_co_u32 v3, vcc_lo, s2, v3
	v_add_co_ci_u32_e64 v4, null, s3, v4, vcc_lo
	s_clause 0x1
	global_load_dword v14, v[1:2], off
	global_load_dword v11, v[3:4], off
.LBB7_4:                                ;   Parent Loop BB7_2 Depth=1
                                        ;     Parent Loop BB7_3 Depth=2
                                        ; =>    This Inner Loop Header: Depth=3
	v_add_nc_u32_e32 v15, v7, v13
	v_add_nc_u32_e32 v17, v7, v12
	s_add_i32 s4, s9, s28
	v_add_nc_u32_e32 v13, s22, v13
	s_lshl_b64 s[30:31], s[4:5], 2
	v_add_nc_u32_e32 v19, 8, v15
	v_ashrrev_i32_e32 v16, 31, v15
	v_ashrrev_i32_e32 v18, 31, v17
	v_add_nc_u32_e32 v21, 8, v17
	s_add_u32 s30, s6, s30
	v_ashrrev_i32_e32 v20, 31, v19
	v_lshlrev_b64 v[15:16], 2, v[15:16]
	v_lshlrev_b64 v[17:18], 2, v[17:18]
	v_ashrrev_i32_e32 v22, 31, v21
	s_addc_u32 s31, s7, s31
	v_lshlrev_b64 v[19:20], 2, v[19:20]
	s_ashr_i32 s21, s20, 31
	v_add_co_u32 v15, vcc_lo, s0, v15
	v_add_co_ci_u32_e64 v16, null, s1, v16, vcc_lo
	v_add_co_u32 v19, vcc_lo, s0, v19
	v_add_co_ci_u32_e64 v20, null, s1, v20, vcc_lo
	;; [unrolled: 2-line block ×3, first 2 shown]
	s_clause 0x1
	global_load_dword v23, v[15:16], off
	global_load_dword v19, v[19:20], off
	v_lshlrev_b64 v[15:16], 2, v[21:22]
	s_load_dword s4, s[16:17], 0x0
	global_load_dword v17, v[17:18], off
	s_lshl_b64 s[34:35], s[20:21], 2
	v_add_nc_u32_e32 v12, 16, v12
	s_add_u32 s34, s6, s34
	v_add_co_u32 v15, vcc_lo, s0, v15
	v_add_co_ci_u32_e64 v16, null, s1, v16, vcc_lo
	s_addc_u32 s35, s7, s35
	s_add_i32 s28, s28, 1
	s_add_i32 s20, s20, s8
	global_load_dword v15, v[15:16], off
	s_load_dword s21, s[18:19], 0x0
	s_clause 0x1
	s_load_dword s29, s[34:35], 0x0
	s_load_dword s30, s[30:31], 0x0
	s_add_u32 s18, s18, s10
	s_addc_u32 s19, s19, s11
	s_add_u32 s16, s16, 4
	s_addc_u32 s17, s17, 0
	s_cmp_eq_u32 s8, s28
	s_waitcnt vmcnt(3) lgkmcnt(0)
	v_fma_f32 v14, -s4, v23, v14
	s_waitcnt vmcnt(2)
	v_fmac_f32_e32 v11, s4, v19
	s_waitcnt vmcnt(1)
	v_fmac_f32_e32 v14, s21, v17
	v_fma_f32 v11, -v17, s29, v11
	v_fmac_f32_e32 v14, s30, v19
	v_fmac_f32_e32 v11, s30, v23
	s_waitcnt vmcnt(0)
	v_fma_f32 v14, -v15, s29, v14
	v_fma_f32 v11, -s21, v15, v11
	s_cbranch_scc0 .LBB7_4
; %bb.5:                                ;   in Loop: Header=BB7_3 Depth=2
	s_add_i32 s27, s27, 1
	s_add_i32 s26, s26, 1
	v_add_nc_u32_e32 v10, 16, v10
	s_add_u32 s14, s14, 4
	s_addc_u32 s15, s15, 0
	s_cmp_eq_u32 s27, s8
	global_store_dword v[1:2], v14, off
	global_store_dword v[3:4], v11, off
	s_cbranch_scc0 .LBB7_3
; %bb.6:                                ;   in Loop: Header=BB7_2 Depth=1
	s_add_i32 s24, s24, 1
	s_add_i32 s9, s9, s8
	v_add_nc_u32_e32 v9, s22, v9
	s_add_u32 s12, s12, s10
	s_addc_u32 s13, s13, s11
	s_cmp_eq_u32 s24, s8
	s_cbranch_scc0 .LBB7_2
.LBB7_7:
	s_endpgm
	.section	.rodata,"a",@progbits
	.p2align	6, 0x0
	.amdhsa_kernel _Z23comm_aosoa_naive_directPK15HIP_vector_typeIfLj2EEPS0_S2_i
		.amdhsa_group_segment_fixed_size 0
		.amdhsa_private_segment_fixed_size 0
		.amdhsa_kernarg_size 288
		.amdhsa_user_sgpr_count 6
		.amdhsa_user_sgpr_private_segment_buffer 1
		.amdhsa_user_sgpr_dispatch_ptr 0
		.amdhsa_user_sgpr_queue_ptr 0
		.amdhsa_user_sgpr_kernarg_segment_ptr 1
		.amdhsa_user_sgpr_dispatch_id 0
		.amdhsa_user_sgpr_flat_scratch_init 0
		.amdhsa_user_sgpr_private_segment_size 0
		.amdhsa_wavefront_size32 1
		.amdhsa_uses_dynamic_stack 0
		.amdhsa_system_sgpr_private_segment_wavefront_offset 0
		.amdhsa_system_sgpr_workgroup_id_x 1
		.amdhsa_system_sgpr_workgroup_id_y 0
		.amdhsa_system_sgpr_workgroup_id_z 0
		.amdhsa_system_sgpr_workgroup_info 0
		.amdhsa_system_vgpr_workitem_id 0
		.amdhsa_next_free_vgpr 24
		.amdhsa_next_free_sgpr 36
		.amdhsa_reserve_vcc 1
		.amdhsa_reserve_flat_scratch 0
		.amdhsa_float_round_mode_32 0
		.amdhsa_float_round_mode_16_64 0
		.amdhsa_float_denorm_mode_32 3
		.amdhsa_float_denorm_mode_16_64 3
		.amdhsa_dx10_clamp 1
		.amdhsa_ieee_mode 1
		.amdhsa_fp16_overflow 0
		.amdhsa_workgroup_processor_mode 1
		.amdhsa_memory_ordered 1
		.amdhsa_forward_progress 1
		.amdhsa_shared_vgpr_count 0
		.amdhsa_exception_fp_ieee_invalid_op 0
		.amdhsa_exception_fp_denorm_src 0
		.amdhsa_exception_fp_ieee_div_zero 0
		.amdhsa_exception_fp_ieee_overflow 0
		.amdhsa_exception_fp_ieee_underflow 0
		.amdhsa_exception_fp_ieee_inexact 0
		.amdhsa_exception_int_div_zero 0
	.end_amdhsa_kernel
	.text
.Lfunc_end7:
	.size	_Z23comm_aosoa_naive_directPK15HIP_vector_typeIfLj2EEPS0_S2_i, .Lfunc_end7-_Z23comm_aosoa_naive_directPK15HIP_vector_typeIfLj2EEPS0_S2_i
                                        ; -- End function
	.set _Z23comm_aosoa_naive_directPK15HIP_vector_typeIfLj2EEPS0_S2_i.num_vgpr, 24
	.set _Z23comm_aosoa_naive_directPK15HIP_vector_typeIfLj2EEPS0_S2_i.num_agpr, 0
	.set _Z23comm_aosoa_naive_directPK15HIP_vector_typeIfLj2EEPS0_S2_i.numbered_sgpr, 36
	.set _Z23comm_aosoa_naive_directPK15HIP_vector_typeIfLj2EEPS0_S2_i.num_named_barrier, 0
	.set _Z23comm_aosoa_naive_directPK15HIP_vector_typeIfLj2EEPS0_S2_i.private_seg_size, 0
	.set _Z23comm_aosoa_naive_directPK15HIP_vector_typeIfLj2EEPS0_S2_i.uses_vcc, 1
	.set _Z23comm_aosoa_naive_directPK15HIP_vector_typeIfLj2EEPS0_S2_i.uses_flat_scratch, 0
	.set _Z23comm_aosoa_naive_directPK15HIP_vector_typeIfLj2EEPS0_S2_i.has_dyn_sized_stack, 0
	.set _Z23comm_aosoa_naive_directPK15HIP_vector_typeIfLj2EEPS0_S2_i.has_recursion, 0
	.set _Z23comm_aosoa_naive_directPK15HIP_vector_typeIfLj2EEPS0_S2_i.has_indirect_call, 0
	.section	.AMDGPU.csdata,"",@progbits
; Kernel info:
; codeLenInByte = 716
; TotalNumSgprs: 38
; NumVgprs: 24
; ScratchSize: 0
; MemoryBound: 0
; FloatMode: 240
; IeeeMode: 1
; LDSByteSize: 0 bytes/workgroup (compile time only)
; SGPRBlocks: 0
; VGPRBlocks: 2
; NumSGPRsForWavesPerEU: 38
; NumVGPRsForWavesPerEU: 24
; Occupancy: 16
; WaveLimiterHint : 0
; COMPUTE_PGM_RSRC2:SCRATCH_EN: 0
; COMPUTE_PGM_RSRC2:USER_SGPR: 6
; COMPUTE_PGM_RSRC2:TRAP_HANDLER: 0
; COMPUTE_PGM_RSRC2:TGID_X_EN: 1
; COMPUTE_PGM_RSRC2:TGID_Y_EN: 0
; COMPUTE_PGM_RSRC2:TGID_Z_EN: 0
; COMPUTE_PGM_RSRC2:TIDIG_COMP_CNT: 0
	.text
	.protected	_Z33comm_aosoa_naive_constants_directPK15HIP_vector_typeIfLj2EEPS0_S2_ ; -- Begin function _Z33comm_aosoa_naive_constants_directPK15HIP_vector_typeIfLj2EEPS0_S2_
	.globl	_Z33comm_aosoa_naive_constants_directPK15HIP_vector_typeIfLj2EEPS0_S2_
	.p2align	8
	.type	_Z33comm_aosoa_naive_constants_directPK15HIP_vector_typeIfLj2EEPS0_S2_,@function
_Z33comm_aosoa_naive_constants_directPK15HIP_vector_typeIfLj2EEPS0_S2_: ; @_Z33comm_aosoa_naive_constants_directPK15HIP_vector_typeIfLj2EEPS0_S2_
; %bb.0:
	s_clause 0x1
	s_load_dword s0, s[4:5], 0x24
	s_load_dwordx2 s[12:13], s[4:5], 0x10
	s_mov_b32 s17, 0
	s_mov_b32 s24, 0
	s_waitcnt lgkmcnt(0)
	s_and_b32 s0, s0, 0xffff
	v_mad_u64_u32 v[2:3], null, s6, s0, v[0:1]
	s_load_dwordx4 s[0:3], s[4:5], 0x0
	s_add_u32 s14, s12, 0x16c
	s_addc_u32 s15, s13, 0
	v_ashrrev_i32_e32 v0, 31, v2
	v_lshrrev_b32_e32 v0, 29, v0
	v_add_nc_u32_e32 v0, v2, v0
	v_ashrrev_i32_e32 v3, 3, v0
	v_and_b32_e32 v4, -8, v0
	v_mad_u64_u32 v[0:1], null, 0x308, v3, v[2:3]
	v_sub_nc_u32_e32 v8, v2, v4
	v_mul_lo_u32 v1, 0x310, v3
	v_add_nc_u32_e32 v9, 8, v8
	v_mov_b32_e32 v10, v0
.LBB8_1:                                ; =>This Loop Header: Depth=1
                                        ;     Child Loop BB8_2 Depth 2
	v_mad_u64_u32 v[2:3], null, 0x70, s24, v[1:2]
	s_mul_i32 s16, s24, 7
	s_mov_b32 s26, 0
	s_lshl_b64 s[4:5], s[16:17], 2
	s_add_u32 s22, s12, s4
	s_addc_u32 s23, s13, s5
	s_lshl_b32 s4, s16, 4
	v_add_nc_u32_e32 v3, v2, v8
	v_add3_u32 v6, s4, 16, v1
	v_add_nc_u32_e32 v5, v9, v2
	v_add3_u32 v17, s4, 32, v1
	v_add3_u32 v19, s4, 48, v1
	v_ashrrev_i32_e32 v4, 31, v3
	v_add_nc_u32_e32 v2, v6, v8
	v_add_nc_u32_e32 v11, v9, v6
	v_ashrrev_i32_e32 v6, 31, v5
	v_add3_u32 v29, 0x50, s4, v1
	v_lshlrev_b64 v[13:14], 2, v[3:4]
	v_add_nc_u32_e32 v4, v17, v8
	v_ashrrev_i32_e32 v12, 31, v11
	v_lshlrev_b64 v[5:6], 2, v[5:6]
	v_ashrrev_i32_e32 v3, 31, v2
	v_add_nc_u32_e32 v27, v29, v8
	s_waitcnt lgkmcnt(0)
	v_add_co_u32 v13, vcc_lo, s0, v13
	v_add_co_ci_u32_e64 v14, null, s1, v14, vcc_lo
	v_add_co_u32 v15, vcc_lo, s0, v5
	v_add_co_ci_u32_e64 v16, null, s1, v6, vcc_lo
	v_lshlrev_b64 v[6:7], 2, v[11:12]
	v_add_nc_u32_e32 v11, v9, v17
	v_ashrrev_i32_e32 v5, 31, v4
	v_lshlrev_b64 v[2:3], 2, v[2:3]
	v_add_nc_u32_e32 v17, v19, v8
	v_add_nc_u32_e32 v19, v9, v19
	v_ashrrev_i32_e32 v12, 31, v11
	v_lshlrev_b64 v[4:5], 2, v[4:5]
	v_ashrrev_i32_e32 v28, 31, v27
	v_add_co_u32 v2, vcc_lo, s0, v2
	v_lshlrev_b64 v[11:12], 2, v[11:12]
	v_add_co_ci_u32_e64 v3, null, s1, v3, vcc_lo
	v_add_co_u32 v6, vcc_lo, s0, v6
	v_ashrrev_i32_e32 v20, 31, v19
	v_add_co_ci_u32_e64 v7, null, s1, v7, vcc_lo
	v_add_co_u32 v4, vcc_lo, s0, v4
	v_add_co_ci_u32_e64 v5, null, s1, v5, vcc_lo
	v_add_co_u32 v21, vcc_lo, s0, v11
	v_ashrrev_i32_e32 v18, 31, v17
	v_add_co_ci_u32_e64 v22, null, s1, v12, vcc_lo
	v_lshlrev_b64 v[11:12], 2, v[19:20]
	v_add3_u32 v20, s4, 64, v1
	v_lshlrev_b64 v[17:18], 2, v[17:18]
	v_add_nc_u32_e32 v23, v9, v20
	v_add_nc_u32_e32 v19, v20, v8
	v_add_co_u32 v17, vcc_lo, s0, v17
	v_add_co_ci_u32_e64 v18, null, s1, v18, vcc_lo
	v_ashrrev_i32_e32 v24, 31, v23
	v_add_co_u32 v25, vcc_lo, s0, v11
	v_ashrrev_i32_e32 v20, 31, v19
	v_add_co_ci_u32_e64 v26, null, s1, v12, vcc_lo
	s_clause 0x7
	global_load_dword v11, v[13:14], off
	global_load_dword v12, v[15:16], off
	;; [unrolled: 1-line block ×8, first 2 shown]
	v_lshlrev_b64 v[4:5], 2, v[23:24]
	v_add3_u32 v23, 0x60, s4, v1
	v_lshlrev_b64 v[2:3], 2, v[19:20]
	v_add_nc_u32_e32 v6, v9, v29
	v_lshlrev_b64 v[19:20], 2, v[27:28]
	v_add_nc_u32_e32 v21, v23, v8
	v_add_nc_u32_e32 v23, v9, v23
	v_ashrrev_i32_e32 v7, 31, v6
	v_add_co_u32 v2, vcc_lo, s0, v2
	v_ashrrev_i32_e32 v22, 31, v21
	v_add_co_ci_u32_e64 v3, null, s1, v3, vcc_lo
	v_add_co_u32 v4, vcc_lo, s0, v4
	v_ashrrev_i32_e32 v24, 31, v23
	v_add_co_ci_u32_e64 v5, null, s1, v5, vcc_lo
	v_lshlrev_b64 v[6:7], 2, v[6:7]
	v_add_co_u32 v25, vcc_lo, s0, v19
	v_add_co_ci_u32_e64 v26, null, s1, v20, vcc_lo
	v_lshlrev_b64 v[19:20], 2, v[21:22]
	v_lshlrev_b64 v[21:22], 2, v[23:24]
	v_add_co_u32 v6, vcc_lo, s0, v6
	v_add_co_ci_u32_e64 v7, null, s1, v7, vcc_lo
	v_add_co_u32 v23, vcc_lo, s0, v19
	v_add_co_ci_u32_e64 v24, null, s1, v20, vcc_lo
	;; [unrolled: 2-line block ×3, first 2 shown]
	s_clause 0x5
	global_load_dword v19, v[2:3], off
	global_load_dword v20, v[4:5], off
	;; [unrolled: 1-line block ×6, first 2 shown]
	s_clause 0x5
	s_load_dwordx4 s[4:7], s[22:23], 0x0
	s_load_dwordx2 s[18:19], s[22:23], 0x10
	s_load_dword s16, s[22:23], 0x18
	s_load_dwordx4 s[8:11], s[22:23], 0xc4
	s_load_dwordx2 s[20:21], s[22:23], 0xd4
	s_load_dword s25, s[22:23], 0xdc
	s_mov_b64 s[22:23], s[14:15]
.LBB8_2:                                ;   Parent Loop BB8_1 Depth=1
                                        ; =>  This Inner Loop Header: Depth=2
	v_add_nc_u32_e32 v4, s26, v10
	v_add_nc_u32_e32 v2, s26, v0
	s_add_u32 s28, s22, 0xfffffe94
	s_addc_u32 s29, s23, -1
	s_add_u32 s30, s22, 0xffffff58
	v_add_nc_u32_e32 v6, 8, v4
	v_ashrrev_i32_e32 v5, 31, v4
	v_add_nc_u32_e32 v25, 8, v2
	v_ashrrev_i32_e32 v3, 31, v2
	;; [unrolled: 2-line block ×3, first 2 shown]
	v_lshlrev_b64 v[4:5], 2, v[4:5]
	v_ashrrev_i32_e32 v26, 31, v25
	v_lshlrev_b64 v[48:49], 2, v[2:3]
	v_add_nc_u32_e32 v29, 0x78, v2
	v_lshlrev_b64 v[6:7], 2, v[6:7]
	v_ashrrev_i32_e32 v28, 31, v27
	v_lshlrev_b64 v[25:26], 2, v[25:26]
	v_add_co_u32 v3, vcc_lo, s2, v4
	v_add_co_ci_u32_e64 v4, null, s3, v5, vcc_lo
	v_add_co_u32 v48, vcc_lo, s0, v48
	v_add_co_ci_u32_e64 v49, null, s1, v49, vcc_lo
	;; [unrolled: 2-line block ×4, first 2 shown]
	global_load_dword v7, v[48:49], off
	s_clause 0x1
	global_load_dword v49, v[5:6], off
	global_load_dword v50, v[3:4], off
	;; [unrolled: 1-line block ×3, first 2 shown]
	v_ashrrev_i32_e32 v30, 31, v29
	v_lshlrev_b64 v[25:26], 2, v[27:28]
	v_add_nc_u32_e32 v31, 0xe0, v2
	v_add_nc_u32_e32 v33, 0xe8, v2
	;; [unrolled: 1-line block ×3, first 2 shown]
	v_lshlrev_b64 v[27:28], 2, v[29:30]
	v_add_nc_u32_e32 v37, 0x158, v2
	v_add_co_u32 v25, vcc_lo, s0, v25
	v_add_co_ci_u32_e64 v26, null, s1, v26, vcc_lo
	v_add_co_u32 v27, vcc_lo, s0, v27
	v_add_co_ci_u32_e64 v28, null, s1, v28, vcc_lo
	s_clause 0x1
	global_load_dword v52, v[25:26], off
	global_load_dword v53, v[27:28], off
	v_ashrrev_i32_e32 v32, 31, v31
	v_ashrrev_i32_e32 v34, 31, v33
	;; [unrolled: 1-line block ×4, first 2 shown]
	v_add_nc_u32_e32 v39, 0x1c0, v2
	v_lshlrev_b64 v[25:26], 2, v[31:32]
	v_lshlrev_b64 v[27:28], 2, v[33:34]
	v_add_nc_u32_e32 v41, 0x1c8, v2
	v_add_nc_u32_e32 v43, 0x230, v2
	v_add_nc_u32_e32 v45, 0x238, v2
	v_add_nc_u32_e32 v47, 0x2a0, v2
	v_add_co_u32 v25, vcc_lo, s0, v25
	v_add_co_ci_u32_e64 v26, null, s1, v26, vcc_lo
	v_add_co_u32 v27, vcc_lo, s0, v27
	v_add_co_ci_u32_e64 v28, null, s1, v28, vcc_lo
	s_clause 0x1
	global_load_dword v31, v[25:26], off
	global_load_dword v32, v[27:28], off
	v_lshlrev_b64 v[25:26], 2, v[35:36]
	v_lshlrev_b64 v[27:28], 2, v[37:38]
	v_add_nc_u32_e32 v29, 0x2a8, v2
	v_ashrrev_i32_e32 v40, 31, v39
	v_ashrrev_i32_e32 v42, 31, v41
	;; [unrolled: 1-line block ×3, first 2 shown]
	v_add_co_u32 v25, vcc_lo, s0, v25
	v_add_co_ci_u32_e64 v26, null, s1, v26, vcc_lo
	v_add_co_u32 v27, vcc_lo, s0, v27
	v_add_co_ci_u32_e64 v28, null, s1, v28, vcc_lo
	s_clause 0x1
	global_load_dword v2, v[25:26], off
	global_load_dword v33, v[27:28], off
	v_lshlrev_b64 v[25:26], 2, v[39:40]
	v_lshlrev_b64 v[27:28], 2, v[41:42]
	v_ashrrev_i32_e32 v46, 31, v45
	v_ashrrev_i32_e32 v48, 31, v47
	;; [unrolled: 1-line block ×3, first 2 shown]
	s_addc_u32 s31, s23, -1
	v_add_co_u32 v25, vcc_lo, s0, v25
	v_add_co_ci_u32_e64 v26, null, s1, v26, vcc_lo
	v_add_co_u32 v27, vcc_lo, s0, v27
	v_add_co_ci_u32_e64 v28, null, s1, v28, vcc_lo
	s_clause 0x1
	global_load_dword v34, v[25:26], off
	global_load_dword v35, v[27:28], off
	v_lshlrev_b64 v[25:26], 2, v[43:44]
	v_lshlrev_b64 v[27:28], 2, v[45:46]
	v_add_co_u32 v25, vcc_lo, s0, v25
	v_add_co_ci_u32_e64 v26, null, s1, v26, vcc_lo
	v_add_co_u32 v27, vcc_lo, s0, v27
	v_add_co_ci_u32_e64 v28, null, s1, v28, vcc_lo
	s_clause 0x1
	global_load_dword v36, v[25:26], off
	global_load_dword v37, v[27:28], off
	v_lshlrev_b64 v[25:26], 2, v[47:48]
	v_lshlrev_b64 v[27:28], 2, v[29:30]
	v_add_co_u32 v25, vcc_lo, s0, v25
	v_add_co_ci_u32_e64 v26, null, s1, v26, vcc_lo
	v_add_co_u32 v27, vcc_lo, s0, v27
	v_add_co_ci_u32_e64 v28, null, s1, v28, vcc_lo
	s_clause 0x1
	global_load_dword v25, v[25:26], off
	global_load_dword v26, v[27:28], off
	s_clause 0x1
	s_load_dword s27, s[28:29], 0x0
	s_load_dword s33, s[30:31], 0x0
	s_add_u32 s28, s22, 0xfffffeb0
	s_addc_u32 s29, s23, -1
	s_add_u32 s30, s22, 0xffffff74
	s_addc_u32 s31, s23, -1
	s_clause 0x1
	s_load_dword s34, s[28:29], 0x0
	s_load_dword s35, s[30:31], 0x0
	s_add_u32 s28, s22, 0xfffffecc
	s_addc_u32 s29, s23, -1
	s_add_u32 s30, s22, 0xffffff90
	s_addc_u32 s31, s23, -1
	s_waitcnt vmcnt(14) lgkmcnt(0)
	v_fma_f32 v27, -s4, v7, v49
	s_waitcnt vmcnt(12)
	v_fmac_f32_e32 v50, s4, v51
	v_fmac_f32_e32 v27, s27, v11
	v_fma_f32 v28, -v11, s33, v50
	v_fmac_f32_e32 v27, s8, v51
	v_fmac_f32_e32 v28, s8, v7
	v_fma_f32 v7, -v12, s33, v27
	v_fma_f32 v27, -s27, v12, v28
	s_clause 0x1
	s_load_dword s27, s[28:29], 0x0
	s_load_dword s33, s[30:31], 0x0
	s_add_u32 s28, s22, 0xfffffee8
	s_waitcnt vmcnt(11)
	v_fma_f32 v7, -s5, v52, v7
	s_addc_u32 s29, s23, -1
	s_waitcnt vmcnt(10)
	v_fmac_f32_e32 v27, s5, v53
	s_add_u32 s30, s22, 0xffffffac
	s_addc_u32 s31, s23, -1
	v_fmac_f32_e32 v7, s34, v13
	v_fma_f32 v27, -v13, s35, v27
	v_fmac_f32_e32 v7, s9, v53
	v_fmac_f32_e32 v27, s9, v52
	v_fma_f32 v7, -v14, s35, v7
	v_fma_f32 v27, -s34, v14, v27
	s_clause 0x1
	s_load_dword s34, s[28:29], 0x0
	s_load_dword s35, s[30:31], 0x0
	s_add_u32 s28, s22, 0xffffff04
	s_addc_u32 s29, s23, -1
	s_waitcnt vmcnt(9)
	v_fma_f32 v7, -s6, v31, v7
	s_waitcnt vmcnt(8)
	v_fmac_f32_e32 v27, s6, v32
	s_add_u32 s30, s22, 0xffffffc8
	s_addc_u32 s31, s23, -1
	s_waitcnt lgkmcnt(0)
	v_fmac_f32_e32 v7, s27, v15
	v_fma_f32 v27, -v15, s33, v27
	v_fmac_f32_e32 v7, s10, v32
	v_fmac_f32_e32 v27, s10, v31
	v_fma_f32 v7, -v16, s33, v7
	v_fma_f32 v27, -s27, v16, v27
	s_clause 0x1
	s_load_dword s27, s[28:29], 0x0
	s_load_dword s33, s[30:31], 0x0
	s_add_u32 s28, s22, 0xffffff20
	s_addc_u32 s29, s23, -1
	s_waitcnt vmcnt(7)
	v_fma_f32 v7, -s7, v2, v7
	s_waitcnt vmcnt(6)
	v_fmac_f32_e32 v27, s7, v33
	s_add_u32 s30, s22, 0xffffffe4
	s_addc_u32 s31, s23, -1
	v_fmac_f32_e32 v7, s34, v17
	v_fma_f32 v27, -v17, s35, v27
	v_fmac_f32_e32 v7, s11, v33
	v_fmac_f32_e32 v27, s11, v2
	v_fma_f32 v2, -v18, s35, v7
	v_fma_f32 v7, -s34, v18, v27
	s_clause 0x1
	s_load_dword s34, s[28:29], 0x0
	s_load_dword s30, s[30:31], 0x0
	s_add_u32 s28, s22, 0xffffff3c
	s_addc_u32 s29, s23, -1
	s_waitcnt vmcnt(5)
	v_fma_f32 v2, -s18, v34, v2
	s_waitcnt vmcnt(4)
	v_fmac_f32_e32 v7, s18, v35
	s_add_i32 s26, s26, 16
	s_load_dword s28, s[28:29], 0x0
	s_waitcnt lgkmcnt(0)
	v_fmac_f32_e32 v2, s27, v19
	v_fma_f32 v7, -v19, s33, v7
	v_fmac_f32_e32 v2, s20, v35
	v_fmac_f32_e32 v7, s20, v34
	v_fma_f32 v2, -v20, s33, v2
	v_fma_f32 v7, -s27, v20, v7
	s_load_dword s27, s[22:23], 0x0
	s_add_u32 s22, s22, 4
	s_addc_u32 s23, s23, 0
	s_waitcnt vmcnt(3)
	v_fma_f32 v2, -s19, v36, v2
	s_waitcnt vmcnt(2)
	v_fmac_f32_e32 v7, s19, v37
	s_cmpk_lg_i32 s26, 0x70
	v_fmac_f32_e32 v2, s34, v21
	v_fma_f32 v7, -v21, s30, v7
	v_fmac_f32_e32 v2, s21, v37
	v_fmac_f32_e32 v7, s21, v36
	v_fma_f32 v2, -v22, s30, v2
	v_fma_f32 v7, -s34, v22, v7
	s_waitcnt vmcnt(1)
	v_fma_f32 v2, -s16, v25, v2
	s_waitcnt vmcnt(0)
	v_fmac_f32_e32 v7, s16, v26
	v_fmac_f32_e32 v2, s28, v23
	s_waitcnt lgkmcnt(0)
	v_fma_f32 v7, -v23, s27, v7
	v_fmac_f32_e32 v2, s25, v26
	v_fmac_f32_e32 v7, s25, v25
	v_fma_f32 v2, -v24, s27, v2
	v_fma_f32 v7, -s28, v24, v7
	global_store_dword v[5:6], v2, off
	global_store_dword v[3:4], v7, off
	s_cbranch_scc1 .LBB8_2
; %bb.3:                                ;   in Loop: Header=BB8_1 Depth=1
	v_add_nc_u32_e32 v10, 0x70, v10
	s_add_i32 s24, s24, 1
	s_cmp_eq_u32 s24, 7
	s_cbranch_scc0 .LBB8_1
; %bb.4:
	s_endpgm
	.section	.rodata,"a",@progbits
	.p2align	6, 0x0
	.amdhsa_kernel _Z33comm_aosoa_naive_constants_directPK15HIP_vector_typeIfLj2EEPS0_S2_
		.amdhsa_group_segment_fixed_size 0
		.amdhsa_private_segment_fixed_size 0
		.amdhsa_kernarg_size 280
		.amdhsa_user_sgpr_count 6
		.amdhsa_user_sgpr_private_segment_buffer 1
		.amdhsa_user_sgpr_dispatch_ptr 0
		.amdhsa_user_sgpr_queue_ptr 0
		.amdhsa_user_sgpr_kernarg_segment_ptr 1
		.amdhsa_user_sgpr_dispatch_id 0
		.amdhsa_user_sgpr_flat_scratch_init 0
		.amdhsa_user_sgpr_private_segment_size 0
		.amdhsa_wavefront_size32 1
		.amdhsa_uses_dynamic_stack 0
		.amdhsa_system_sgpr_private_segment_wavefront_offset 0
		.amdhsa_system_sgpr_workgroup_id_x 1
		.amdhsa_system_sgpr_workgroup_id_y 0
		.amdhsa_system_sgpr_workgroup_id_z 0
		.amdhsa_system_sgpr_workgroup_info 0
		.amdhsa_system_vgpr_workitem_id 0
		.amdhsa_next_free_vgpr 54
		.amdhsa_next_free_sgpr 36
		.amdhsa_reserve_vcc 1
		.amdhsa_reserve_flat_scratch 0
		.amdhsa_float_round_mode_32 0
		.amdhsa_float_round_mode_16_64 0
		.amdhsa_float_denorm_mode_32 3
		.amdhsa_float_denorm_mode_16_64 3
		.amdhsa_dx10_clamp 1
		.amdhsa_ieee_mode 1
		.amdhsa_fp16_overflow 0
		.amdhsa_workgroup_processor_mode 1
		.amdhsa_memory_ordered 1
		.amdhsa_forward_progress 1
		.amdhsa_shared_vgpr_count 0
		.amdhsa_exception_fp_ieee_invalid_op 0
		.amdhsa_exception_fp_denorm_src 0
		.amdhsa_exception_fp_ieee_div_zero 0
		.amdhsa_exception_fp_ieee_overflow 0
		.amdhsa_exception_fp_ieee_underflow 0
		.amdhsa_exception_fp_ieee_inexact 0
		.amdhsa_exception_int_div_zero 0
	.end_amdhsa_kernel
	.text
.Lfunc_end8:
	.size	_Z33comm_aosoa_naive_constants_directPK15HIP_vector_typeIfLj2EEPS0_S2_, .Lfunc_end8-_Z33comm_aosoa_naive_constants_directPK15HIP_vector_typeIfLj2EEPS0_S2_
                                        ; -- End function
	.set _Z33comm_aosoa_naive_constants_directPK15HIP_vector_typeIfLj2EEPS0_S2_.num_vgpr, 54
	.set _Z33comm_aosoa_naive_constants_directPK15HIP_vector_typeIfLj2EEPS0_S2_.num_agpr, 0
	.set _Z33comm_aosoa_naive_constants_directPK15HIP_vector_typeIfLj2EEPS0_S2_.numbered_sgpr, 36
	.set _Z33comm_aosoa_naive_constants_directPK15HIP_vector_typeIfLj2EEPS0_S2_.num_named_barrier, 0
	.set _Z33comm_aosoa_naive_constants_directPK15HIP_vector_typeIfLj2EEPS0_S2_.private_seg_size, 0
	.set _Z33comm_aosoa_naive_constants_directPK15HIP_vector_typeIfLj2EEPS0_S2_.uses_vcc, 1
	.set _Z33comm_aosoa_naive_constants_directPK15HIP_vector_typeIfLj2EEPS0_S2_.uses_flat_scratch, 0
	.set _Z33comm_aosoa_naive_constants_directPK15HIP_vector_typeIfLj2EEPS0_S2_.has_dyn_sized_stack, 0
	.set _Z33comm_aosoa_naive_constants_directPK15HIP_vector_typeIfLj2EEPS0_S2_.has_recursion, 0
	.set _Z33comm_aosoa_naive_constants_directPK15HIP_vector_typeIfLj2EEPS0_S2_.has_indirect_call, 0
	.section	.AMDGPU.csdata,"",@progbits
; Kernel info:
; codeLenInByte = 2316
; TotalNumSgprs: 38
; NumVgprs: 54
; ScratchSize: 0
; MemoryBound: 0
; FloatMode: 240
; IeeeMode: 1
; LDSByteSize: 0 bytes/workgroup (compile time only)
; SGPRBlocks: 0
; VGPRBlocks: 6
; NumSGPRsForWavesPerEU: 38
; NumVGPRsForWavesPerEU: 54
; Occupancy: 16
; WaveLimiterHint : 0
; COMPUTE_PGM_RSRC2:SCRATCH_EN: 0
; COMPUTE_PGM_RSRC2:USER_SGPR: 6
; COMPUTE_PGM_RSRC2:TRAP_HANDLER: 0
; COMPUTE_PGM_RSRC2:TGID_X_EN: 1
; COMPUTE_PGM_RSRC2:TGID_Y_EN: 0
; COMPUTE_PGM_RSRC2:TGID_Z_EN: 0
; COMPUTE_PGM_RSRC2:TIDIG_COMP_CNT: 0
	.text
	.protected	_Z38comm_aosoa_naive_constants_direct_permPK15HIP_vector_typeIfLj2EEPS0_S2_ ; -- Begin function _Z38comm_aosoa_naive_constants_direct_permPK15HIP_vector_typeIfLj2EEPS0_S2_
	.globl	_Z38comm_aosoa_naive_constants_direct_permPK15HIP_vector_typeIfLj2EEPS0_S2_
	.p2align	8
	.type	_Z38comm_aosoa_naive_constants_direct_permPK15HIP_vector_typeIfLj2EEPS0_S2_,@function
_Z38comm_aosoa_naive_constants_direct_permPK15HIP_vector_typeIfLj2EEPS0_S2_: ; @_Z38comm_aosoa_naive_constants_direct_permPK15HIP_vector_typeIfLj2EEPS0_S2_
; %bb.0:
	s_load_dword s0, s[4:5], 0x24
	s_mov_b64 s[14:15], 0xc4
	s_mov_b32 s24, 0
	s_waitcnt lgkmcnt(0)
	s_and_b32 s0, s0, 0xffff
	v_mad_u64_u32 v[0:1], null, s6, s0, v[0:1]
	s_clause 0x1
	s_load_dwordx4 s[0:3], s[4:5], 0x0
	s_load_dwordx2 s[12:13], s[4:5], 0x10
	v_ashrrev_i32_e32 v1, 31, v0
	v_mov_b32_e32 v35, v0
	v_lshrrev_b32_e32 v1, 29, v1
	v_add_nc_u32_e32 v1, v0, v1
	v_and_b32_e32 v2, -8, v1
	v_ashrrev_i32_e32 v3, 3, v1
	v_sub_nc_u32_e32 v32, v0, v2
	v_mul_lo_u32 v1, 0x310, v3
	v_mul_lo_u32 v33, 0x308, v3
	v_add_nc_u32_e32 v34, 8, v32
.LBB9_1:                                ; =>This Loop Header: Depth=1
                                        ;     Child Loop BB9_2 Depth 2
	v_mad_u64_u32 v[18:19], null, 0x70, s24, v[1:2]
	v_mov_b32_e32 v36, v35
	v_mov_b32_e32 v37, v0
	s_mov_b64 s[16:17], 0
	s_mov_b64 s[18:19], s[14:15]
	v_add_nc_u32_e32 v5, 16, v18
	v_add_nc_u32_e32 v2, v34, v18
	v_add_nc_u32_e32 v4, v18, v32
	v_add_nc_u32_e32 v7, 32, v18
	v_add_nc_u32_e32 v15, 48, v18
	v_add_nc_u32_e32 v6, v34, v5
	v_ashrrev_i32_e32 v3, 31, v2
	v_add_nc_u32_e32 v8, v5, v32
	v_ashrrev_i32_e32 v5, 31, v4
	v_add_nc_u32_e32 v10, v34, v7
	v_add_nc_u32_e32 v12, v7, v32
	v_ashrrev_i32_e32 v7, 31, v6
	v_lshlrev_b64 v[2:3], 2, v[2:3]
	v_ashrrev_i32_e32 v9, 31, v8
	v_add_nc_u32_e32 v20, 64, v18
	v_lshlrev_b64 v[4:5], 2, v[4:5]
	v_add_nc_u32_e32 v14, v34, v15
	v_ashrrev_i32_e32 v11, 31, v10
	v_lshlrev_b64 v[6:7], 2, v[6:7]
	v_add_nc_u32_e32 v16, v15, v32
	v_ashrrev_i32_e32 v13, 31, v12
	v_add_nc_u32_e32 v25, 0x50, v18
	v_lshlrev_b64 v[8:9], 2, v[8:9]
	s_waitcnt lgkmcnt(0)
	v_add_co_u32 v2, vcc_lo, s2, v2
	v_add_nc_u32_e32 v19, v34, v20
	v_ashrrev_i32_e32 v15, 31, v14
	v_add_co_ci_u32_e64 v3, null, s3, v3, vcc_lo
	v_add_co_u32 v4, vcc_lo, s2, v4
	v_lshlrev_b64 v[10:11], 2, v[10:11]
	v_add_nc_u32_e32 v21, v20, v32
	v_ashrrev_i32_e32 v17, 31, v16
	v_add_nc_u32_e32 v29, 0x60, v18
	v_add_co_ci_u32_e64 v5, null, s3, v5, vcc_lo
	v_add_co_u32 v6, vcc_lo, s2, v6
	v_lshlrev_b64 v[12:13], 2, v[12:13]
	v_add_nc_u32_e32 v23, v34, v25
	v_ashrrev_i32_e32 v20, 31, v19
	v_add_co_ci_u32_e64 v7, null, s3, v7, vcc_lo
	v_add_co_u32 v8, vcc_lo, s2, v8
	v_lshlrev_b64 v[14:15], 2, v[14:15]
	v_add_nc_u32_e32 v25, v25, v32
	v_ashrrev_i32_e32 v22, 31, v21
	;; [unrolled: 5-line block ×4, first 2 shown]
	v_add_co_ci_u32_e64 v13, null, s3, v13, vcc_lo
	v_add_co_u32 v14, vcc_lo, s2, v14
	v_lshlrev_b64 v[21:22], 2, v[21:22]
	v_ashrrev_i32_e32 v28, 31, v27
	v_add_co_ci_u32_e64 v15, null, s3, v15, vcc_lo
	v_add_co_u32 v16, vcc_lo, s2, v16
	v_lshlrev_b64 v[23:24], 2, v[23:24]
	v_ashrrev_i32_e32 v30, 31, v29
	v_add_co_ci_u32_e64 v17, null, s3, v17, vcc_lo
	v_add_co_u32 v18, vcc_lo, s2, v19
	v_lshlrev_b64 v[25:26], 2, v[25:26]
	v_add_co_ci_u32_e64 v19, null, s3, v20, vcc_lo
	v_add_co_u32 v20, vcc_lo, s2, v21
	v_lshlrev_b64 v[27:28], 2, v[27:28]
	;; [unrolled: 3-line block ×3, first 2 shown]
	v_add_co_ci_u32_e64 v23, null, s3, v24, vcc_lo
	v_add_co_u32 v24, vcc_lo, s2, v25
	v_add_co_ci_u32_e64 v25, null, s3, v26, vcc_lo
	v_add_co_u32 v26, vcc_lo, s2, v27
	;; [unrolled: 2-line block ×3, first 2 shown]
	v_add_co_ci_u32_e64 v29, null, s3, v30, vcc_lo
.LBB9_2:                                ;   Parent Loop BB9_1 Depth=1
                                        ; =>  This Inner Loop Header: Depth=2
	v_add_nc_u32_e32 v30, v33, v37
	v_add_nc_u32_e32 v38, v33, v36
	s_clause 0x1
	global_load_dword v53, v[2:3], off
	global_load_dword v54, v[4:5], off
	s_add_u32 s4, s12, s18
	s_addc_u32 s5, s13, s19
	v_add_nc_u32_e32 v42, 8, v30
	v_ashrrev_i32_e32 v39, 31, v38
	v_add_nc_u32_e32 v40, 8, v38
	v_ashrrev_i32_e32 v31, 31, v30
	s_add_u32 s6, s4, 0xffffff3c
	v_ashrrev_i32_e32 v43, 31, v42
	v_lshlrev_b64 v[38:39], 2, v[38:39]
	v_ashrrev_i32_e32 v41, 31, v40
	v_lshlrev_b64 v[44:45], 2, v[30:31]
	v_add_nc_u32_e32 v47, 48, v30
	v_lshlrev_b64 v[42:43], 2, v[42:43]
	s_addc_u32 s7, s5, -1
	v_lshlrev_b64 v[40:41], 2, v[40:41]
	v_add_co_u32 v38, vcc_lo, s0, v38
	v_add_co_ci_u32_e64 v39, null, s1, v39, vcc_lo
	v_add_co_u32 v44, vcc_lo, s0, v44
	v_add_co_ci_u32_e64 v45, null, s1, v45, vcc_lo
	;; [unrolled: 2-line block ×4, first 2 shown]
	s_clause 0x3
	global_load_dword v38, v[38:39], off
	global_load_dword v55, v[44:45], off
	;; [unrolled: 1-line block ×4, first 2 shown]
	v_add_nc_u32_e32 v39, 16, v30
	v_add_nc_u32_e32 v41, 24, v30
	;; [unrolled: 1-line block ×5, first 2 shown]
	v_ashrrev_i32_e32 v40, 31, v39
	v_ashrrev_i32_e32 v42, 31, v41
	;; [unrolled: 1-line block ×3, first 2 shown]
	s_clause 0x1
	s_load_dword s26, s[6:7], 0x0
	s_load_dword s25, s[4:5], 0x0
	v_ashrrev_i32_e32 v46, 31, v45
	v_lshlrev_b64 v[39:40], 2, v[39:40]
	v_add_nc_u32_e32 v51, 64, v30
	v_lshlrev_b64 v[41:42], 2, v[41:42]
	s_add_u32 s20, s12, s16
	v_ashrrev_i32_e32 v48, 31, v47
	s_addc_u32 s21, s13, s17
	v_lshlrev_b64 v[43:44], 2, v[43:44]
	v_ashrrev_i32_e32 v50, 31, v49
	s_clause 0x3
	s_load_dwordx4 s[4:7], s[20:21], 0x0
	s_load_dwordx2 s[22:23], s[20:21], 0x10
	s_load_dword s27, s[20:21], 0x18
	s_load_dwordx4 s[8:11], s[20:21], 0xc4
	v_lshlrev_b64 v[45:46], 2, v[45:46]
	v_add_co_u32 v39, vcc_lo, s0, v39
	v_ashrrev_i32_e32 v52, 31, v51
	v_lshlrev_b64 v[47:48], 2, v[47:48]
	v_add_co_ci_u32_e64 v40, null, s1, v40, vcc_lo
	v_add_co_u32 v41, vcc_lo, s0, v41
	v_lshlrev_b64 v[49:50], 2, v[49:50]
	v_add_co_ci_u32_e64 v42, null, s1, v42, vcc_lo
	v_add_co_u32 v43, vcc_lo, s0, v43
	;; [unrolled: 3-line block ×3, first 2 shown]
	v_add_co_ci_u32_e64 v46, null, s1, v46, vcc_lo
	v_add_co_u32 v47, vcc_lo, s0, v47
	v_add_co_ci_u32_e64 v48, null, s1, v48, vcc_lo
	v_add_co_u32 v49, vcc_lo, s0, v49
	;; [unrolled: 2-line block ×3, first 2 shown]
	v_add_co_ci_u32_e64 v52, null, s1, v52, vcc_lo
	s_clause 0x6
	global_load_dword v39, v[39:40], off
	global_load_dword v40, v[41:42], off
	;; [unrolled: 1-line block ×7, first 2 shown]
	s_add_u32 s18, s18, 4
	v_add_nc_u32_e32 v37, 0x70, v37
	v_add_nc_u32_e32 v36, 16, v36
	s_addc_u32 s19, s19, 0
	s_add_u32 s16, s16, 28
	s_addc_u32 s17, s17, 0
	s_cmpk_eq_i32 s16, 0xc4
	s_waitcnt vmcnt(9) lgkmcnt(0)
	v_fma_f32 v45, -s26, v55, v53
	s_waitcnt vmcnt(8)
	v_fmac_f32_e32 v54, s26, v56
	v_fmac_f32_e32 v45, s4, v38
	v_fma_f32 v46, -v38, s8, v54
	v_fmac_f32_e32 v45, s25, v56
	v_fmac_f32_e32 v46, s25, v55
	s_waitcnt vmcnt(7)
	v_fma_f32 v45, -v31, s8, v45
	v_fma_f32 v46, -v31, s4, v46
	global_store_dword v[2:3], v45, off
	global_store_dword v[4:5], v46, off
	s_clause 0x1
	global_load_dword v45, v[6:7], off
	global_load_dword v46, v[8:9], off
	s_waitcnt vmcnt(1)
	v_fma_f32 v45, -s26, v39, v45
	s_waitcnt vmcnt(0)
	v_fmac_f32_e32 v46, s26, v40
	v_fmac_f32_e32 v45, s5, v38
	v_fma_f32 v46, -v38, s9, v46
	v_fmac_f32_e32 v45, s25, v40
	v_fmac_f32_e32 v46, s25, v39
	v_fma_f32 v39, -v31, s9, v45
	v_fma_f32 v40, -v31, s5, v46
	global_store_dword v[6:7], v39, off
	global_store_dword v[8:9], v40, off
	s_clause 0x1
	global_load_dword v39, v[10:11], off
	global_load_dword v40, v[12:13], off
	v_add_nc_u32_e32 v45, 0x68, v30
	v_ashrrev_i32_e32 v46, 31, v45
	v_lshlrev_b64 v[45:46], 2, v[45:46]
	s_waitcnt vmcnt(1)
	v_fma_f32 v39, -s26, v41, v39
	s_waitcnt vmcnt(0)
	v_fmac_f32_e32 v40, s26, v42
	v_fmac_f32_e32 v39, s6, v38
	v_fma_f32 v40, -v38, s10, v40
	v_fmac_f32_e32 v39, s25, v42
	v_fmac_f32_e32 v40, s25, v41
	v_fma_f32 v39, -v31, s10, v39
	v_fma_f32 v40, -v31, s6, v40
	global_store_dword v[10:11], v39, off
	global_store_dword v[12:13], v40, off
	s_clause 0x1
	global_load_dword v41, v[14:15], off
	global_load_dword v42, v[16:17], off
	v_add_nc_u32_e32 v39, 0x48, v30
	v_ashrrev_i32_e32 v40, 31, v39
	v_lshlrev_b64 v[39:40], 2, v[39:40]
	v_add_co_u32 v39, vcc_lo, s0, v39
	v_add_co_ci_u32_e64 v40, null, s1, v40, vcc_lo
	global_load_dword v48, v[39:40], off
	s_waitcnt vmcnt(2)
	v_fma_f32 v39, -s26, v43, v41
	s_waitcnt vmcnt(1)
	v_fmac_f32_e32 v42, s26, v44
	v_add_nc_u32_e32 v41, 0x58, v30
	v_fmac_f32_e32 v39, s7, v38
	v_fma_f32 v40, -v38, s11, v42
	v_ashrrev_i32_e32 v42, 31, v41
	v_fmac_f32_e32 v39, s25, v44
	v_fmac_f32_e32 v40, s25, v43
	v_add_nc_u32_e32 v43, 0x60, v30
	v_lshlrev_b64 v[41:42], 2, v[41:42]
	v_fma_f32 v39, -v31, s11, v39
	v_fma_f32 v40, -v31, s7, v40
	global_store_dword v[14:15], v39, off
	global_store_dword v[16:17], v40, off
	s_clause 0x1
	global_load_dword v49, v[18:19], off
	global_load_dword v50, v[20:21], off
	v_add_nc_u32_e32 v39, 0x50, v30
	v_ashrrev_i32_e32 v44, 31, v43
	s_clause 0x1
	s_load_dword s6, s[20:21], 0xdc
	s_load_dwordx2 s[4:5], s[20:21], 0xd4
	v_ashrrev_i32_e32 v40, 31, v39
	v_lshlrev_b64 v[43:44], 2, v[43:44]
	v_lshlrev_b64 v[39:40], 2, v[39:40]
	v_add_co_u32 v39, vcc_lo, s0, v39
	v_add_co_ci_u32_e64 v40, null, s1, v40, vcc_lo
	v_add_co_u32 v41, vcc_lo, s0, v41
	v_add_co_ci_u32_e64 v42, null, s1, v42, vcc_lo
	v_add_co_u32 v43, vcc_lo, s0, v43
	v_add_co_ci_u32_e64 v44, null, s1, v44, vcc_lo
	v_add_co_u32 v45, vcc_lo, s0, v45
	v_add_co_ci_u32_e64 v46, null, s1, v46, vcc_lo
	s_clause 0x3
	global_load_dword v30, v[39:40], off
	global_load_dword v39, v[41:42], off
	;; [unrolled: 1-line block ×4, first 2 shown]
	s_waitcnt vmcnt(5)
	v_fma_f32 v42, -s26, v47, v49
	s_waitcnt vmcnt(4)
	v_fmac_f32_e32 v50, s26, v48
	v_fmac_f32_e32 v42, s22, v38
	s_waitcnt lgkmcnt(0)
	v_fma_f32 v43, -v38, s4, v50
	v_fmac_f32_e32 v42, s25, v48
	v_fmac_f32_e32 v43, s25, v47
	v_fma_f32 v42, -v31, s4, v42
	v_fma_f32 v43, -v31, s22, v43
	global_store_dword v[18:19], v42, off
	global_store_dword v[20:21], v43, off
	s_clause 0x1
	global_load_dword v42, v[22:23], off
	global_load_dword v43, v[24:25], off
	s_waitcnt vmcnt(1)
	v_fma_f32 v42, -s26, v30, v42
	s_waitcnt vmcnt(0)
	v_fmac_f32_e32 v43, s26, v39
	v_fmac_f32_e32 v42, s23, v38
	v_fma_f32 v43, -v38, s5, v43
	v_fmac_f32_e32 v42, s25, v39
	v_fmac_f32_e32 v43, s25, v30
	v_fma_f32 v30, -v31, s5, v42
	v_fma_f32 v39, -v31, s23, v43
	global_store_dword v[22:23], v30, off
	global_store_dword v[24:25], v39, off
	s_clause 0x1
	global_load_dword v30, v[26:27], off
	global_load_dword v39, v[28:29], off
	s_waitcnt vmcnt(1)
	v_fma_f32 v30, -s26, v40, v30
	s_waitcnt vmcnt(0)
	v_fmac_f32_e32 v39, s26, v41
	v_fmac_f32_e32 v30, s27, v38
	v_fma_f32 v38, -v38, s6, v39
	v_fmac_f32_e32 v30, s25, v41
	v_fmac_f32_e32 v38, s25, v40
	v_fma_f32 v30, -v31, s6, v30
	v_fma_f32 v31, -v31, s27, v38
	global_store_dword v[26:27], v30, off
	global_store_dword v[28:29], v31, off
	s_cbranch_scc0 .LBB9_2
; %bb.3:                                ;   in Loop: Header=BB9_1 Depth=1
	s_add_i32 s24, s24, 1
	v_add_nc_u32_e32 v35, 0x70, v35
	s_add_u32 s14, s14, 28
	s_addc_u32 s15, s15, 0
	s_cmp_eq_u32 s24, 7
	s_cbranch_scc0 .LBB9_1
; %bb.4:
	s_endpgm
	.section	.rodata,"a",@progbits
	.p2align	6, 0x0
	.amdhsa_kernel _Z38comm_aosoa_naive_constants_direct_permPK15HIP_vector_typeIfLj2EEPS0_S2_
		.amdhsa_group_segment_fixed_size 0
		.amdhsa_private_segment_fixed_size 0
		.amdhsa_kernarg_size 280
		.amdhsa_user_sgpr_count 6
		.amdhsa_user_sgpr_private_segment_buffer 1
		.amdhsa_user_sgpr_dispatch_ptr 0
		.amdhsa_user_sgpr_queue_ptr 0
		.amdhsa_user_sgpr_kernarg_segment_ptr 1
		.amdhsa_user_sgpr_dispatch_id 0
		.amdhsa_user_sgpr_flat_scratch_init 0
		.amdhsa_user_sgpr_private_segment_size 0
		.amdhsa_wavefront_size32 1
		.amdhsa_uses_dynamic_stack 0
		.amdhsa_system_sgpr_private_segment_wavefront_offset 0
		.amdhsa_system_sgpr_workgroup_id_x 1
		.amdhsa_system_sgpr_workgroup_id_y 0
		.amdhsa_system_sgpr_workgroup_id_z 0
		.amdhsa_system_sgpr_workgroup_info 0
		.amdhsa_system_vgpr_workitem_id 0
		.amdhsa_next_free_vgpr 57
		.amdhsa_next_free_sgpr 28
		.amdhsa_reserve_vcc 1
		.amdhsa_reserve_flat_scratch 0
		.amdhsa_float_round_mode_32 0
		.amdhsa_float_round_mode_16_64 0
		.amdhsa_float_denorm_mode_32 3
		.amdhsa_float_denorm_mode_16_64 3
		.amdhsa_dx10_clamp 1
		.amdhsa_ieee_mode 1
		.amdhsa_fp16_overflow 0
		.amdhsa_workgroup_processor_mode 1
		.amdhsa_memory_ordered 1
		.amdhsa_forward_progress 1
		.amdhsa_shared_vgpr_count 0
		.amdhsa_exception_fp_ieee_invalid_op 0
		.amdhsa_exception_fp_denorm_src 0
		.amdhsa_exception_fp_ieee_div_zero 0
		.amdhsa_exception_fp_ieee_overflow 0
		.amdhsa_exception_fp_ieee_underflow 0
		.amdhsa_exception_fp_ieee_inexact 0
		.amdhsa_exception_int_div_zero 0
	.end_amdhsa_kernel
	.text
.Lfunc_end9:
	.size	_Z38comm_aosoa_naive_constants_direct_permPK15HIP_vector_typeIfLj2EEPS0_S2_, .Lfunc_end9-_Z38comm_aosoa_naive_constants_direct_permPK15HIP_vector_typeIfLj2EEPS0_S2_
                                        ; -- End function
	.set _Z38comm_aosoa_naive_constants_direct_permPK15HIP_vector_typeIfLj2EEPS0_S2_.num_vgpr, 57
	.set _Z38comm_aosoa_naive_constants_direct_permPK15HIP_vector_typeIfLj2EEPS0_S2_.num_agpr, 0
	.set _Z38comm_aosoa_naive_constants_direct_permPK15HIP_vector_typeIfLj2EEPS0_S2_.numbered_sgpr, 28
	.set _Z38comm_aosoa_naive_constants_direct_permPK15HIP_vector_typeIfLj2EEPS0_S2_.num_named_barrier, 0
	.set _Z38comm_aosoa_naive_constants_direct_permPK15HIP_vector_typeIfLj2EEPS0_S2_.private_seg_size, 0
	.set _Z38comm_aosoa_naive_constants_direct_permPK15HIP_vector_typeIfLj2EEPS0_S2_.uses_vcc, 1
	.set _Z38comm_aosoa_naive_constants_direct_permPK15HIP_vector_typeIfLj2EEPS0_S2_.uses_flat_scratch, 0
	.set _Z38comm_aosoa_naive_constants_direct_permPK15HIP_vector_typeIfLj2EEPS0_S2_.has_dyn_sized_stack, 0
	.set _Z38comm_aosoa_naive_constants_direct_permPK15HIP_vector_typeIfLj2EEPS0_S2_.has_recursion, 0
	.set _Z38comm_aosoa_naive_constants_direct_permPK15HIP_vector_typeIfLj2EEPS0_S2_.has_indirect_call, 0
	.section	.AMDGPU.csdata,"",@progbits
; Kernel info:
; codeLenInByte = 2124
; TotalNumSgprs: 30
; NumVgprs: 57
; ScratchSize: 0
; MemoryBound: 0
; FloatMode: 240
; IeeeMode: 1
; LDSByteSize: 0 bytes/workgroup (compile time only)
; SGPRBlocks: 0
; VGPRBlocks: 7
; NumSGPRsForWavesPerEU: 30
; NumVGPRsForWavesPerEU: 57
; Occupancy: 16
; WaveLimiterHint : 1
; COMPUTE_PGM_RSRC2:SCRATCH_EN: 0
; COMPUTE_PGM_RSRC2:USER_SGPR: 6
; COMPUTE_PGM_RSRC2:TRAP_HANDLER: 0
; COMPUTE_PGM_RSRC2:TGID_X_EN: 1
; COMPUTE_PGM_RSRC2:TGID_Y_EN: 0
; COMPUTE_PGM_RSRC2:TGID_Z_EN: 0
; COMPUTE_PGM_RSRC2:TIDIG_COMP_CNT: 0
	.text
	.protected	_Z10comm_aosoaPK15HIP_vector_typeIfLj2EEPS0_S2_i ; -- Begin function _Z10comm_aosoaPK15HIP_vector_typeIfLj2EEPS0_S2_i
	.globl	_Z10comm_aosoaPK15HIP_vector_typeIfLj2EEPS0_S2_i
	.p2align	8
	.type	_Z10comm_aosoaPK15HIP_vector_typeIfLj2EEPS0_S2_i,@function
_Z10comm_aosoaPK15HIP_vector_typeIfLj2EEPS0_S2_i: ; @_Z10comm_aosoaPK15HIP_vector_typeIfLj2EEPS0_S2_i
; %bb.0:
	s_load_dword s6, s[4:5], 0x18
	s_waitcnt lgkmcnt(0)
	s_cmp_lt_i32 s6, 1
	s_cbranch_scc1 .LBB10_7
; %bb.1:
	s_clause 0x1
	s_load_dwordx2 s[8:9], s[4:5], 0x10
	s_load_dwordx4 s[0:3], s[4:5], 0x0
	v_lshl_add_u32 v1, s7, 6, v1
	s_lshl_b32 s22, s6, 4
	s_mov_b32 s5, 0
	s_mul_i32 s4, s22, s6
	v_add_nc_u32_e32 v3, 8, v0
	v_mul_lo_u32 v4, v1, s4
	v_mov_b32_e32 v2, 0
	v_mov_b32_e32 v5, v0
	s_mul_i32 s23, s6, s6
	s_mov_b32 s7, s5
	s_mov_b32 s24, s23
	s_lshl_b64 s[10:11], s[6:7], 2
	s_mov_b32 s7, 0
	s_waitcnt lgkmcnt(0)
	s_mov_b64 s[12:13], s[8:9]
.LBB10_2:                               ; =>This Loop Header: Depth=1
                                        ;     Child Loop BB10_3 Depth 2
                                        ;       Child Loop BB10_4 Depth 3
	v_mov_b32_e32 v6, v0
	s_mul_i32 s25, s7, s6
	s_mov_b64 s[14:15], s[8:9]
	s_mov_b32 s26, s23
	s_mov_b32 s27, s5
.LBB10_3:                               ;   Parent Loop BB10_2 Depth=1
                                        ; =>  This Loop Header: Depth=2
                                        ;       Child Loop BB10_4 Depth 3
	v_mov_b32_e32 v8, 0
	v_mov_b32_e32 v9, v5
	;; [unrolled: 1-line block ×4, first 2 shown]
	s_mov_b32 s28, 0
	s_mov_b64 s[16:17], s[12:13]
	s_mov_b64 s[18:19], s[14:15]
	s_mov_b32 s20, s26
.LBB10_4:                               ;   Parent Loop BB10_2 Depth=1
                                        ;     Parent Loop BB10_3 Depth=2
                                        ; =>    This Inner Loop Header: Depth=3
	v_add_nc_u32_e32 v1, v4, v10
	v_add_nc_u32_e32 v11, v4, v9
	v_mov_b32_e32 v12, v2
	s_add_i32 s4, s24, s28
	v_add_nc_u32_e32 v10, s22, v10
	v_lshlrev_b64 v[13:14], 2, v[1:2]
	v_add_nc_u32_e32 v1, 8, v1
	v_lshlrev_b64 v[15:16], 2, v[11:12]
	s_lshl_b64 s[30:31], s[4:5], 2
	v_add_nc_u32_e32 v9, 16, v9
	s_add_u32 s30, s8, s30
	v_lshlrev_b64 v[17:18], 2, v[1:2]
	v_add_nc_u32_e32 v1, 8, v11
	v_add_co_u32 v11, vcc_lo, s0, v13
	v_add_co_ci_u32_e64 v12, null, s1, v14, vcc_lo
	v_add_co_u32 v13, vcc_lo, s0, v17
	v_add_co_ci_u32_e64 v14, null, s1, v18, vcc_lo
	;; [unrolled: 2-line block ×3, first 2 shown]
	s_clause 0x1
	global_load_dword v17, v[11:12], off
	global_load_dword v13, v[13:14], off
	v_lshlrev_b64 v[11:12], 2, v[1:2]
	s_addc_u32 s31, s9, s31
	global_load_dword v1, v[15:16], off
	s_ashr_i32 s21, s20, 31
	s_load_dword s4, s[16:17], 0x0
	s_lshl_b64 s[34:35], s[20:21], 2
	v_add_co_u32 v11, vcc_lo, s0, v11
	v_add_co_ci_u32_e64 v12, null, s1, v12, vcc_lo
	s_add_u32 s34, s8, s34
	s_addc_u32 s35, s9, s35
	s_add_i32 s28, s28, 1
	global_load_dword v11, v[11:12], off
	s_load_dword s21, s[18:19], 0x0
	s_clause 0x1
	s_load_dword s29, s[34:35], 0x0
	s_load_dword s30, s[30:31], 0x0
	s_add_i32 s20, s20, s6
	s_add_u32 s18, s18, s10
	s_addc_u32 s19, s19, s11
	s_add_u32 s16, s16, 4
	s_addc_u32 s17, s17, 0
	s_cmp_eq_u32 s6, s28
	s_waitcnt vmcnt(3) lgkmcnt(0)
	v_fma_f32 v8, -s4, v17, v8
	s_waitcnt vmcnt(2)
	v_fmac_f32_e32 v7, s4, v13
	s_waitcnt vmcnt(1)
	v_fmac_f32_e32 v8, s21, v1
	v_fma_f32 v1, -v1, s29, v7
	v_fmac_f32_e32 v8, s30, v13
	v_fmac_f32_e32 v1, s30, v17
	s_waitcnt vmcnt(0)
	v_fma_f32 v8, -v11, s29, v8
	v_fma_f32 v7, -s21, v11, v1
	s_cbranch_scc0 .LBB10_4
; %bb.5:                                ;   in Loop: Header=BB10_3 Depth=2
	s_add_i32 s4, s27, s25
	s_add_i32 s27, s27, 1
	v_lshl_add_u32 v11, s4, 4, v4
	s_add_i32 s26, s26, 1
	v_add_nc_u32_e32 v6, 16, v6
	s_add_u32 s14, s14, 4
	s_addc_u32 s15, s15, 0
	v_add_nc_u32_e32 v1, v11, v0
	s_cmp_eq_u32 s27, s6
	v_lshlrev_b64 v[9:10], 2, v[1:2]
	v_add_nc_u32_e32 v1, v3, v11
	v_lshlrev_b64 v[11:12], 2, v[1:2]
	v_add_co_u32 v9, vcc_lo, s2, v9
	v_add_co_ci_u32_e64 v10, null, s3, v10, vcc_lo
	v_add_co_u32 v11, vcc_lo, s2, v11
	v_add_co_ci_u32_e64 v12, null, s3, v12, vcc_lo
	s_clause 0x1
	global_load_dword v1, v[9:10], off
	global_load_dword v13, v[11:12], off
	s_waitcnt vmcnt(1)
	v_add_f32_e32 v1, v7, v1
	s_waitcnt vmcnt(0)
	v_add_f32_e32 v7, v8, v13
	global_store_dword v[9:10], v1, off
	global_store_dword v[11:12], v7, off
	s_cbranch_scc0 .LBB10_3
; %bb.6:                                ;   in Loop: Header=BB10_2 Depth=1
	s_add_i32 s7, s7, 1
	s_add_i32 s24, s24, s6
	v_add_nc_u32_e32 v5, s22, v5
	s_add_u32 s12, s12, s10
	s_addc_u32 s13, s13, s11
	s_cmp_eq_u32 s7, s6
	s_cbranch_scc0 .LBB10_2
.LBB10_7:
	s_endpgm
	.section	.rodata,"a",@progbits
	.p2align	6, 0x0
	.amdhsa_kernel _Z10comm_aosoaPK15HIP_vector_typeIfLj2EEPS0_S2_i
		.amdhsa_group_segment_fixed_size 0
		.amdhsa_private_segment_fixed_size 0
		.amdhsa_kernarg_size 28
		.amdhsa_user_sgpr_count 6
		.amdhsa_user_sgpr_private_segment_buffer 1
		.amdhsa_user_sgpr_dispatch_ptr 0
		.amdhsa_user_sgpr_queue_ptr 0
		.amdhsa_user_sgpr_kernarg_segment_ptr 1
		.amdhsa_user_sgpr_dispatch_id 0
		.amdhsa_user_sgpr_flat_scratch_init 0
		.amdhsa_user_sgpr_private_segment_size 0
		.amdhsa_wavefront_size32 1
		.amdhsa_uses_dynamic_stack 0
		.amdhsa_system_sgpr_private_segment_wavefront_offset 0
		.amdhsa_system_sgpr_workgroup_id_x 1
		.amdhsa_system_sgpr_workgroup_id_y 1
		.amdhsa_system_sgpr_workgroup_id_z 0
		.amdhsa_system_sgpr_workgroup_info 0
		.amdhsa_system_vgpr_workitem_id 1
		.amdhsa_next_free_vgpr 19
		.amdhsa_next_free_sgpr 36
		.amdhsa_reserve_vcc 1
		.amdhsa_reserve_flat_scratch 0
		.amdhsa_float_round_mode_32 0
		.amdhsa_float_round_mode_16_64 0
		.amdhsa_float_denorm_mode_32 3
		.amdhsa_float_denorm_mode_16_64 3
		.amdhsa_dx10_clamp 1
		.amdhsa_ieee_mode 1
		.amdhsa_fp16_overflow 0
		.amdhsa_workgroup_processor_mode 1
		.amdhsa_memory_ordered 1
		.amdhsa_forward_progress 1
		.amdhsa_shared_vgpr_count 0
		.amdhsa_exception_fp_ieee_invalid_op 0
		.amdhsa_exception_fp_denorm_src 0
		.amdhsa_exception_fp_ieee_div_zero 0
		.amdhsa_exception_fp_ieee_overflow 0
		.amdhsa_exception_fp_ieee_underflow 0
		.amdhsa_exception_fp_ieee_inexact 0
		.amdhsa_exception_int_div_zero 0
	.end_amdhsa_kernel
	.text
.Lfunc_end10:
	.size	_Z10comm_aosoaPK15HIP_vector_typeIfLj2EEPS0_S2_i, .Lfunc_end10-_Z10comm_aosoaPK15HIP_vector_typeIfLj2EEPS0_S2_i
                                        ; -- End function
	.set _Z10comm_aosoaPK15HIP_vector_typeIfLj2EEPS0_S2_i.num_vgpr, 19
	.set _Z10comm_aosoaPK15HIP_vector_typeIfLj2EEPS0_S2_i.num_agpr, 0
	.set _Z10comm_aosoaPK15HIP_vector_typeIfLj2EEPS0_S2_i.numbered_sgpr, 36
	.set _Z10comm_aosoaPK15HIP_vector_typeIfLj2EEPS0_S2_i.num_named_barrier, 0
	.set _Z10comm_aosoaPK15HIP_vector_typeIfLj2EEPS0_S2_i.private_seg_size, 0
	.set _Z10comm_aosoaPK15HIP_vector_typeIfLj2EEPS0_S2_i.uses_vcc, 1
	.set _Z10comm_aosoaPK15HIP_vector_typeIfLj2EEPS0_S2_i.uses_flat_scratch, 0
	.set _Z10comm_aosoaPK15HIP_vector_typeIfLj2EEPS0_S2_i.has_dyn_sized_stack, 0
	.set _Z10comm_aosoaPK15HIP_vector_typeIfLj2EEPS0_S2_i.has_recursion, 0
	.set _Z10comm_aosoaPK15HIP_vector_typeIfLj2EEPS0_S2_i.has_indirect_call, 0
	.section	.AMDGPU.csdata,"",@progbits
; Kernel info:
; codeLenInByte = 664
; TotalNumSgprs: 38
; NumVgprs: 19
; ScratchSize: 0
; MemoryBound: 0
; FloatMode: 240
; IeeeMode: 1
; LDSByteSize: 0 bytes/workgroup (compile time only)
; SGPRBlocks: 0
; VGPRBlocks: 2
; NumSGPRsForWavesPerEU: 38
; NumVGPRsForWavesPerEU: 19
; Occupancy: 16
; WaveLimiterHint : 0
; COMPUTE_PGM_RSRC2:SCRATCH_EN: 0
; COMPUTE_PGM_RSRC2:USER_SGPR: 6
; COMPUTE_PGM_RSRC2:TRAP_HANDLER: 0
; COMPUTE_PGM_RSRC2:TGID_X_EN: 1
; COMPUTE_PGM_RSRC2:TGID_Y_EN: 1
; COMPUTE_PGM_RSRC2:TGID_Z_EN: 0
; COMPUTE_PGM_RSRC2:TIDIG_COMP_CNT: 1
	.text
	.protected	_Z20comm_aosoa_constantsPK15HIP_vector_typeIfLj2EEPS0_S2_ ; -- Begin function _Z20comm_aosoa_constantsPK15HIP_vector_typeIfLj2EEPS0_S2_
	.globl	_Z20comm_aosoa_constantsPK15HIP_vector_typeIfLj2EEPS0_S2_
	.p2align	8
	.type	_Z20comm_aosoa_constantsPK15HIP_vector_typeIfLj2EEPS0_S2_,@function
_Z20comm_aosoa_constantsPK15HIP_vector_typeIfLj2EEPS0_S2_: ; @_Z20comm_aosoa_constantsPK15HIP_vector_typeIfLj2EEPS0_S2_
; %bb.0:
	s_clause 0x1
	s_load_dwordx2 s[12:13], s[4:5], 0x10
	s_load_dwordx4 s[0:3], s[4:5], 0x0
	s_mul_i32 s4, s7, 0xc400
	v_lshl_add_u32 v3, s7, 6, v1
	v_or_b32_e32 v2, s4, v0
	v_add_nc_u32_e32 v5, 8, v0
	s_mov_b32 s15, 0
	s_mov_b32 s24, 0
	v_mad_u32_u24 v4, 0x310, v1, v2
	v_mul_lo_u32 v1, 0x310, v3
	v_mov_b32_e32 v3, 0
	v_mov_b32_e32 v6, v4
	s_waitcnt lgkmcnt(0)
	s_add_u32 s16, s12, 0x16c
	s_addc_u32 s17, s13, 0
.LBB11_1:                               ; =>This Loop Header: Depth=1
                                        ;     Child Loop BB11_2 Depth 2
	v_mad_u64_u32 v[7:8], null, 0x70, s24, v[1:2]
	s_mul_i32 s14, s24, 7
	s_mov_b32 s26, 0
	s_lshl_b64 s[4:5], s[14:15], 2
	s_add_u32 s22, s12, s4
	s_addc_u32 s23, s13, s5
	v_add_nc_u32_e32 v2, v7, v0
	s_lshl_b32 s4, s14, 4
	v_add3_u32 v14, s4, 16, v1
	v_add3_u32 v18, s4, 32, v1
	v_lshlrev_b64 v[8:9], 2, v[2:3]
	v_add_nc_u32_e32 v2, v5, v7
	v_add3_u32 v22, s4, 48, v1
	v_add3_u32 v25, s4, 64, v1
	v_lshlrev_b64 v[10:11], 2, v[2:3]
	v_add_nc_u32_e32 v2, v14, v0
	v_add_co_u32 v7, vcc_lo, s0, v8
	v_add_co_ci_u32_e64 v8, null, s1, v9, vcc_lo
	v_lshlrev_b64 v[12:13], 2, v[2:3]
	v_add_nc_u32_e32 v2, v5, v14
	v_add_co_u32 v9, vcc_lo, s0, v10
	v_add_co_ci_u32_e64 v10, null, s1, v11, vcc_lo
	;; [unrolled: 4-line block ×7, first 2 shown]
	v_add_co_u32 v21, vcc_lo, s0, v22
	v_add_co_ci_u32_e64 v22, null, s1, v23, vcc_lo
	v_lshlrev_b64 v[23:24], 2, v[2:3]
	v_add_nc_u32_e32 v2, v5, v25
	v_add3_u32 v25, 0x50, s4, v1
	s_clause 0x7
	global_load_dword v7, v[7:8], off
	global_load_dword v8, v[9:10], off
	;; [unrolled: 1-line block ×8, first 2 shown]
	v_lshlrev_b64 v[15:16], 2, v[2:3]
	v_add_nc_u32_e32 v2, v25, v0
	v_add_co_u32 v17, vcc_lo, s0, v23
	v_add_co_ci_u32_e64 v18, null, s1, v24, vcc_lo
	v_lshlrev_b64 v[19:20], 2, v[2:3]
	v_add_nc_u32_e32 v2, v5, v25
	v_add3_u32 v25, 0x60, s4, v1
	v_add_co_u32 v21, vcc_lo, s0, v15
	v_add_co_ci_u32_e64 v22, null, s1, v16, vcc_lo
	v_lshlrev_b64 v[15:16], 2, v[2:3]
	v_add_nc_u32_e32 v2, v25, v0
	v_add_co_u32 v19, vcc_lo, s0, v19
	v_add_co_ci_u32_e64 v20, null, s1, v20, vcc_lo
	v_lshlrev_b64 v[23:24], 2, v[2:3]
	v_add_nc_u32_e32 v2, v5, v25
	v_add_co_u32 v25, vcc_lo, s0, v15
	v_add_co_ci_u32_e64 v26, null, s1, v16, vcc_lo
	v_lshlrev_b64 v[15:16], 2, v[2:3]
	v_add_co_u32 v23, vcc_lo, s0, v23
	v_add_co_ci_u32_e64 v24, null, s1, v24, vcc_lo
	v_add_co_u32 v27, vcc_lo, s0, v15
	v_add_co_ci_u32_e64 v28, null, s1, v16, vcc_lo
	s_clause 0x5
	global_load_dword v15, v[17:18], off
	global_load_dword v16, v[21:22], off
	global_load_dword v17, v[19:20], off
	global_load_dword v18, v[25:26], off
	global_load_dword v19, v[23:24], off
	global_load_dword v20, v[27:28], off
	s_clause 0x5
	s_load_dwordx4 s[4:7], s[22:23], 0x0
	s_load_dwordx2 s[18:19], s[22:23], 0x10
	s_load_dword s14, s[22:23], 0x18
	s_load_dwordx4 s[8:11], s[22:23], 0xc4
	s_load_dwordx2 s[20:21], s[22:23], 0xd4
	s_load_dword s25, s[22:23], 0xdc
	s_mov_b64 s[22:23], s[16:17]
.LBB11_2:                               ;   Parent Loop BB11_1 Depth=1
                                        ; =>  This Inner Loop Header: Depth=2
	v_add_nc_u32_e32 v2, s26, v4
	v_mov_b32_e32 v22, v3
	v_mov_b32_e32 v23, v3
	;; [unrolled: 1-line block ×4, first 2 shown]
	v_add_nc_u32_e32 v21, 8, v2
	v_lshlrev_b64 v[36:37], 2, v[2:3]
	v_add_nc_u32_e32 v24, 0x78, v2
	v_mov_b32_e32 v28, v3
	v_add_nc_u32_e32 v27, 0xe8, v2
	v_lshlrev_b64 v[21:22], 2, v[21:22]
	v_mov_b32_e32 v29, v3
	v_add_co_u32 v36, vcc_lo, s0, v36
	v_add_co_ci_u32_e64 v37, null, s1, v37, vcc_lo
	v_add_co_u32 v21, vcc_lo, s0, v21
	v_add_co_ci_u32_e64 v22, null, s1, v22, vcc_lo
	v_mov_b32_e32 v31, v3
	v_add_nc_u32_e32 v30, 0x158, v2
	s_clause 0x1
	global_load_dword v38, v[36:37], off
	global_load_dword v39, v[21:22], off
	v_add_nc_u32_e32 v22, 0x70, v2
	v_mov_b32_e32 v32, v3
	v_mov_b32_e32 v34, v3
	v_add_nc_u32_e32 v33, 0x1c8, v2
	v_mov_b32_e32 v35, v3
	v_lshlrev_b64 v[21:22], 2, v[22:23]
	v_lshlrev_b64 v[23:24], 2, v[24:25]
	v_add_nc_u32_e32 v25, 0xe0, v2
	v_mov_b32_e32 v37, v3
	v_add_nc_u32_e32 v36, 0x238, v2
	s_add_u32 s28, s22, 0xfffffe94
	v_add_co_u32 v21, vcc_lo, s0, v21
	v_add_co_ci_u32_e64 v22, null, s1, v22, vcc_lo
	v_add_co_u32 v23, vcc_lo, s0, v23
	v_add_co_ci_u32_e64 v24, null, s1, v24, vcc_lo
	s_clause 0x1
	global_load_dword v40, v[21:22], off
	global_load_dword v41, v[23:24], off
	v_lshlrev_b64 v[21:22], 2, v[25:26]
	v_lshlrev_b64 v[23:24], 2, v[27:28]
	v_add_nc_u32_e32 v28, 0x150, v2
	v_mov_b32_e32 v25, v3
	s_addc_u32 s29, s23, -1
	s_add_u32 s30, s22, 0xffffff58
	v_add_co_u32 v21, vcc_lo, s0, v21
	v_add_co_ci_u32_e64 v22, null, s1, v22, vcc_lo
	v_add_co_u32 v23, vcc_lo, s0, v23
	v_add_co_ci_u32_e64 v24, null, s1, v24, vcc_lo
	s_clause 0x1
	global_load_dword v42, v[21:22], off
	global_load_dword v43, v[23:24], off
	v_lshlrev_b64 v[21:22], 2, v[28:29]
	v_lshlrev_b64 v[23:24], 2, v[30:31]
	v_add_nc_u32_e32 v31, 0x1c0, v2
	s_addc_u32 s31, s23, -1
	v_add_co_u32 v21, vcc_lo, s0, v21
	v_add_co_ci_u32_e64 v22, null, s1, v22, vcc_lo
	v_add_co_u32 v23, vcc_lo, s0, v23
	v_add_co_ci_u32_e64 v24, null, s1, v24, vcc_lo
	s_clause 0x1
	global_load_dword v28, v[21:22], off
	global_load_dword v29, v[23:24], off
	v_lshlrev_b64 v[21:22], 2, v[31:32]
	v_lshlrev_b64 v[23:24], 2, v[33:34]
	v_add_nc_u32_e32 v34, 0x230, v2
	v_add_co_u32 v21, vcc_lo, s0, v21
	v_add_co_ci_u32_e64 v22, null, s1, v22, vcc_lo
	v_add_co_u32 v23, vcc_lo, s0, v23
	v_add_co_ci_u32_e64 v24, null, s1, v24, vcc_lo
	s_clause 0x1
	global_load_dword v30, v[21:22], off
	global_load_dword v31, v[23:24], off
	v_lshlrev_b64 v[21:22], 2, v[34:35]
	v_lshlrev_b64 v[23:24], 2, v[36:37]
	v_add_co_u32 v21, vcc_lo, s0, v21
	v_add_co_ci_u32_e64 v22, null, s1, v22, vcc_lo
	v_add_co_u32 v26, vcc_lo, s0, v23
	v_add_co_ci_u32_e64 v27, null, s1, v24, vcc_lo
	s_clause 0x1
	global_load_dword v32, v[21:22], off
	global_load_dword v27, v[26:27], off
	v_add_nc_u32_e32 v24, 0x2a0, v2
	v_add_nc_u32_e32 v2, 0x2a8, v2
	v_lshlrev_b64 v[21:22], 2, v[24:25]
	v_lshlrev_b64 v[23:24], 2, v[2:3]
	v_add_nc_u32_e32 v2, s26, v6
	v_add_co_u32 v21, vcc_lo, s0, v21
	v_add_co_ci_u32_e64 v22, null, s1, v22, vcc_lo
	v_add_co_u32 v23, vcc_lo, s0, v23
	v_add_co_ci_u32_e64 v24, null, s1, v24, vcc_lo
	s_clause 0x1
	global_load_dword v33, v[21:22], off
	global_load_dword v34, v[23:24], off
	v_lshlrev_b64 v[25:26], 2, v[2:3]
	v_add_nc_u32_e32 v2, 8, v2
	v_lshlrev_b64 v[21:22], 2, v[2:3]
	v_add_co_u32 v23, vcc_lo, s2, v25
	v_add_co_ci_u32_e64 v24, null, s3, v26, vcc_lo
	v_add_co_u32 v21, vcc_lo, s2, v21
	v_add_co_ci_u32_e64 v22, null, s3, v22, vcc_lo
	s_clause 0x1
	global_load_dword v2, v[23:24], off
	global_load_dword v25, v[21:22], off
	s_clause 0x1
	s_load_dword s27, s[28:29], 0x0
	s_load_dword s33, s[30:31], 0x0
	s_add_u32 s28, s22, 0xfffffeb0
	s_addc_u32 s29, s23, -1
	s_add_u32 s30, s22, 0xffffff74
	s_addc_u32 s31, s23, -1
	s_clause 0x1
	s_load_dword s34, s[28:29], 0x0
	s_load_dword s35, s[30:31], 0x0
	s_add_u32 s28, s22, 0xfffffecc
	s_addc_u32 s29, s23, -1
	s_add_u32 s30, s22, 0xffffff90
	s_addc_u32 s31, s23, -1
	s_waitcnt vmcnt(15) lgkmcnt(0)
	v_fma_f32 v26, -s4, v38, 0
	s_waitcnt vmcnt(14)
	v_fma_f32 v35, s4, v39, 0
	v_fmac_f32_e32 v26, s27, v7
	v_fma_f32 v35, -v7, s33, v35
	v_fmac_f32_e32 v26, s8, v39
	v_fmac_f32_e32 v35, s8, v38
	v_fma_f32 v26, -v8, s33, v26
	v_fma_f32 v35, -s27, v8, v35
	s_clause 0x1
	s_load_dword s27, s[28:29], 0x0
	s_load_dword s33, s[30:31], 0x0
	s_add_u32 s28, s22, 0xfffffee8
	s_addc_u32 s29, s23, -1
	s_add_u32 s30, s22, 0xffffffac
	s_addc_u32 s31, s23, -1
	s_waitcnt vmcnt(13)
	v_fma_f32 v26, -s5, v40, v26
	s_waitcnt vmcnt(12)
	v_fmac_f32_e32 v35, s5, v41
	v_fmac_f32_e32 v26, s34, v9
	v_fma_f32 v35, -v9, s35, v35
	v_fmac_f32_e32 v26, s9, v41
	v_fmac_f32_e32 v35, s9, v40
	v_fma_f32 v26, -v10, s35, v26
	v_fma_f32 v35, -s34, v10, v35
	s_clause 0x1
	s_load_dword s34, s[28:29], 0x0
	s_load_dword s35, s[30:31], 0x0
	s_add_u32 s28, s22, 0xffffff04
	s_addc_u32 s29, s23, -1
	s_waitcnt vmcnt(11)
	v_fma_f32 v26, -s6, v42, v26
	s_waitcnt vmcnt(10)
	v_fmac_f32_e32 v35, s6, v43
	s_add_u32 s30, s22, 0xffffffc8
	s_addc_u32 s31, s23, -1
	s_waitcnt lgkmcnt(0)
	v_fmac_f32_e32 v26, s27, v11
	v_fma_f32 v35, -v11, s33, v35
	v_fmac_f32_e32 v26, s10, v43
	v_fmac_f32_e32 v35, s10, v42
	v_fma_f32 v26, -v12, s33, v26
	v_fma_f32 v35, -s27, v12, v35
	s_clause 0x1
	s_load_dword s27, s[28:29], 0x0
	s_load_dword s33, s[30:31], 0x0
	s_add_u32 s28, s22, 0xffffff20
	s_addc_u32 s29, s23, -1
	s_waitcnt vmcnt(9)
	v_fma_f32 v26, -s7, v28, v26
	s_waitcnt vmcnt(8)
	v_fmac_f32_e32 v35, s7, v29
	s_add_u32 s30, s22, 0xffffffe4
	s_addc_u32 s31, s23, -1
	v_fmac_f32_e32 v26, s34, v13
	v_fma_f32 v35, -v13, s35, v35
	v_fmac_f32_e32 v26, s11, v29
	v_fmac_f32_e32 v35, s11, v28
	v_fma_f32 v26, -v14, s35, v26
	v_fma_f32 v28, -s34, v14, v35
	s_clause 0x1
	s_load_dword s34, s[28:29], 0x0
	s_load_dword s30, s[30:31], 0x0
	s_add_u32 s28, s22, 0xffffff3c
	s_addc_u32 s29, s23, -1
	s_waitcnt vmcnt(7)
	v_fma_f32 v26, -s18, v30, v26
	s_waitcnt vmcnt(6)
	v_fmac_f32_e32 v28, s18, v31
	s_add_i32 s26, s26, 16
	s_load_dword s28, s[28:29], 0x0
	s_waitcnt lgkmcnt(0)
	v_fmac_f32_e32 v26, s27, v15
	v_fma_f32 v28, -v15, s33, v28
	v_fmac_f32_e32 v26, s20, v31
	v_fmac_f32_e32 v28, s20, v30
	v_fma_f32 v26, -v16, s33, v26
	v_fma_f32 v28, -s27, v16, v28
	s_load_dword s27, s[22:23], 0x0
	s_add_u32 s22, s22, 4
	s_addc_u32 s23, s23, 0
	s_waitcnt vmcnt(5)
	v_fma_f32 v26, -s19, v32, v26
	s_waitcnt vmcnt(4)
	v_fmac_f32_e32 v28, s19, v27
	s_cmpk_lg_i32 s26, 0x70
	v_fmac_f32_e32 v26, s34, v17
	v_fma_f32 v28, -v17, s30, v28
	v_fmac_f32_e32 v26, s21, v27
	v_fmac_f32_e32 v28, s21, v32
	v_fma_f32 v26, -v18, s30, v26
	v_fma_f32 v27, -s34, v18, v28
	s_waitcnt vmcnt(3)
	v_fma_f32 v26, -s14, v33, v26
	s_waitcnt vmcnt(2)
	v_fmac_f32_e32 v27, s14, v34
	v_fmac_f32_e32 v26, s28, v19
	s_waitcnt lgkmcnt(0)
	v_fma_f32 v27, -v19, s27, v27
	v_fmac_f32_e32 v26, s25, v34
	v_fmac_f32_e32 v27, s25, v33
	v_fma_f32 v26, -v20, s27, v26
	v_fma_f32 v27, -s28, v20, v27
	s_waitcnt vmcnt(0)
	v_add_f32_e32 v25, v26, v25
	v_add_f32_e32 v2, v27, v2
	global_store_dword v[21:22], v25, off
	global_store_dword v[23:24], v2, off
	s_cbranch_scc1 .LBB11_2
; %bb.3:                                ;   in Loop: Header=BB11_1 Depth=1
	v_add_nc_u32_e32 v6, 0x70, v6
	s_add_i32 s24, s24, 1
	s_cmp_eq_u32 s24, 7
	s_cbranch_scc0 .LBB11_1
; %bb.4:
	s_endpgm
	.section	.rodata,"a",@progbits
	.p2align	6, 0x0
	.amdhsa_kernel _Z20comm_aosoa_constantsPK15HIP_vector_typeIfLj2EEPS0_S2_
		.amdhsa_group_segment_fixed_size 0
		.amdhsa_private_segment_fixed_size 0
		.amdhsa_kernarg_size 24
		.amdhsa_user_sgpr_count 6
		.amdhsa_user_sgpr_private_segment_buffer 1
		.amdhsa_user_sgpr_dispatch_ptr 0
		.amdhsa_user_sgpr_queue_ptr 0
		.amdhsa_user_sgpr_kernarg_segment_ptr 1
		.amdhsa_user_sgpr_dispatch_id 0
		.amdhsa_user_sgpr_flat_scratch_init 0
		.amdhsa_user_sgpr_private_segment_size 0
		.amdhsa_wavefront_size32 1
		.amdhsa_uses_dynamic_stack 0
		.amdhsa_system_sgpr_private_segment_wavefront_offset 0
		.amdhsa_system_sgpr_workgroup_id_x 1
		.amdhsa_system_sgpr_workgroup_id_y 1
		.amdhsa_system_sgpr_workgroup_id_z 0
		.amdhsa_system_sgpr_workgroup_info 0
		.amdhsa_system_vgpr_workitem_id 1
		.amdhsa_next_free_vgpr 44
		.amdhsa_next_free_sgpr 36
		.amdhsa_reserve_vcc 1
		.amdhsa_reserve_flat_scratch 0
		.amdhsa_float_round_mode_32 0
		.amdhsa_float_round_mode_16_64 0
		.amdhsa_float_denorm_mode_32 3
		.amdhsa_float_denorm_mode_16_64 3
		.amdhsa_dx10_clamp 1
		.amdhsa_ieee_mode 1
		.amdhsa_fp16_overflow 0
		.amdhsa_workgroup_processor_mode 1
		.amdhsa_memory_ordered 1
		.amdhsa_forward_progress 1
		.amdhsa_shared_vgpr_count 0
		.amdhsa_exception_fp_ieee_invalid_op 0
		.amdhsa_exception_fp_denorm_src 0
		.amdhsa_exception_fp_ieee_div_zero 0
		.amdhsa_exception_fp_ieee_overflow 0
		.amdhsa_exception_fp_ieee_underflow 0
		.amdhsa_exception_fp_ieee_inexact 0
		.amdhsa_exception_int_div_zero 0
	.end_amdhsa_kernel
	.text
.Lfunc_end11:
	.size	_Z20comm_aosoa_constantsPK15HIP_vector_typeIfLj2EEPS0_S2_, .Lfunc_end11-_Z20comm_aosoa_constantsPK15HIP_vector_typeIfLj2EEPS0_S2_
                                        ; -- End function
	.set _Z20comm_aosoa_constantsPK15HIP_vector_typeIfLj2EEPS0_S2_.num_vgpr, 44
	.set _Z20comm_aosoa_constantsPK15HIP_vector_typeIfLj2EEPS0_S2_.num_agpr, 0
	.set _Z20comm_aosoa_constantsPK15HIP_vector_typeIfLj2EEPS0_S2_.numbered_sgpr, 36
	.set _Z20comm_aosoa_constantsPK15HIP_vector_typeIfLj2EEPS0_S2_.num_named_barrier, 0
	.set _Z20comm_aosoa_constantsPK15HIP_vector_typeIfLj2EEPS0_S2_.private_seg_size, 0
	.set _Z20comm_aosoa_constantsPK15HIP_vector_typeIfLj2EEPS0_S2_.uses_vcc, 1
	.set _Z20comm_aosoa_constantsPK15HIP_vector_typeIfLj2EEPS0_S2_.uses_flat_scratch, 0
	.set _Z20comm_aosoa_constantsPK15HIP_vector_typeIfLj2EEPS0_S2_.has_dyn_sized_stack, 0
	.set _Z20comm_aosoa_constantsPK15HIP_vector_typeIfLj2EEPS0_S2_.has_recursion, 0
	.set _Z20comm_aosoa_constantsPK15HIP_vector_typeIfLj2EEPS0_S2_.has_indirect_call, 0
	.section	.AMDGPU.csdata,"",@progbits
; Kernel info:
; codeLenInByte = 2236
; TotalNumSgprs: 38
; NumVgprs: 44
; ScratchSize: 0
; MemoryBound: 0
; FloatMode: 240
; IeeeMode: 1
; LDSByteSize: 0 bytes/workgroup (compile time only)
; SGPRBlocks: 0
; VGPRBlocks: 5
; NumSGPRsForWavesPerEU: 38
; NumVGPRsForWavesPerEU: 44
; Occupancy: 16
; WaveLimiterHint : 0
; COMPUTE_PGM_RSRC2:SCRATCH_EN: 0
; COMPUTE_PGM_RSRC2:USER_SGPR: 6
; COMPUTE_PGM_RSRC2:TRAP_HANDLER: 0
; COMPUTE_PGM_RSRC2:TGID_X_EN: 1
; COMPUTE_PGM_RSRC2:TGID_Y_EN: 1
; COMPUTE_PGM_RSRC2:TGID_Z_EN: 0
; COMPUTE_PGM_RSRC2:TIDIG_COMP_CNT: 1
	.text
	.protected	_Z25comm_aosoa_constants_permPK15HIP_vector_typeIfLj2EEPS0_S2_ ; -- Begin function _Z25comm_aosoa_constants_permPK15HIP_vector_typeIfLj2EEPS0_S2_
	.globl	_Z25comm_aosoa_constants_permPK15HIP_vector_typeIfLj2EEPS0_S2_
	.p2align	8
	.type	_Z25comm_aosoa_constants_permPK15HIP_vector_typeIfLj2EEPS0_S2_,@function
_Z25comm_aosoa_constants_permPK15HIP_vector_typeIfLj2EEPS0_S2_: ; @_Z25comm_aosoa_constants_permPK15HIP_vector_typeIfLj2EEPS0_S2_
; %bb.0:
	s_clause 0x1
	s_load_dwordx4 s[0:3], s[4:5], 0x0
	s_load_dwordx2 s[12:13], s[4:5], 0x10
	v_lshl_add_u32 v2, s7, 6, v1
	s_mul_i32 s7, s7, 0xc400
	v_add_nc_u32_e32 v33, 8, v0
	v_or_b32_e32 v34, s7, v0
	v_mul_u32_u24_e32 v1, 0x310, v1
	v_mul_lo_u32 v2, 0x310, v2
	v_mov_b32_e32 v4, 0
	s_mov_b64 s[14:15], 0xc4
	v_mov_b32_e32 v35, v34
	s_mov_b32 s24, 0
.LBB12_1:                               ; =>This Loop Header: Depth=1
                                        ;     Child Loop BB12_2 Depth 2
	v_mad_u64_u32 v[23:24], null, 0x70, s24, v[2:3]
	s_mov_b64 s[16:17], 0
	s_mov_b64 s[18:19], s[14:15]
	v_add_nc_u32_e32 v3, v23, v0
	v_add_nc_u32_e32 v11, 16, v23
	;; [unrolled: 1-line block ×5, first 2 shown]
	v_lshlrev_b64 v[5:6], 2, v[3:4]
	v_add_nc_u32_e32 v3, v33, v23
	v_add_nc_u32_e32 v28, 0x50, v23
	;; [unrolled: 1-line block ×3, first 2 shown]
	v_lshlrev_b64 v[7:8], 2, v[3:4]
	v_add_nc_u32_e32 v3, v11, v0
	s_waitcnt lgkmcnt(0)
	v_add_co_u32 v5, vcc_lo, s2, v5
	v_add_co_ci_u32_e64 v6, null, s3, v6, vcc_lo
	v_lshlrev_b64 v[9:10], 2, v[3:4]
	v_add_nc_u32_e32 v3, v33, v11
	v_add_co_u32 v7, vcc_lo, s2, v7
	v_add_co_ci_u32_e64 v8, null, s3, v8, vcc_lo
	v_lshlrev_b64 v[11:12], 2, v[3:4]
	v_add_nc_u32_e32 v3, v15, v0
	;; [unrolled: 4-line block ×11, first 2 shown]
	v_add_co_u32 v27, vcc_lo, s2, v28
	v_add_co_ci_u32_e64 v28, null, s3, v29, vcc_lo
	v_lshlrev_b64 v[36:37], 2, v[3:4]
	v_add_co_u32 v29, vcc_lo, s2, v30
	v_add_co_ci_u32_e64 v30, null, s3, v31, vcc_lo
	v_add_co_u32 v31, vcc_lo, s2, v36
	v_add_co_ci_u32_e64 v32, null, s3, v37, vcc_lo
	v_mov_b32_e32 v36, v35
	v_mov_b32_e32 v37, v34
.LBB12_2:                               ;   Parent Loop BB12_1 Depth=1
                                        ; =>  This Inner Loop Header: Depth=2
	v_add_nc_u32_e32 v3, v1, v36
	v_mov_b32_e32 v41, v4
	s_clause 0x1
	global_load_dword v54, v[5:6], off
	global_load_dword v55, v[7:8], off
	s_add_u32 s4, s12, s18
	v_mov_b32_e32 v47, v4
	v_lshlrev_b64 v[38:39], 2, v[3:4]
	v_add_nc_u32_e32 v3, 8, v3
	s_addc_u32 s5, s13, s19
	s_add_u32 s6, s4, 0xffffff3c
	v_mov_b32_e32 v49, v4
	s_addc_u32 s7, s5, -1
	v_lshlrev_b64 v[42:43], 2, v[3:4]
	v_add_nc_u32_e32 v3, v1, v37
	v_add_co_u32 v38, vcc_lo, s0, v38
	v_add_co_ci_u32_e64 v39, null, s1, v39, vcc_lo
	v_add_nc_u32_e32 v40, 8, v3
	v_add_co_u32 v42, vcc_lo, s0, v42
	v_lshlrev_b64 v[44:45], 2, v[3:4]
	v_add_co_ci_u32_e64 v43, null, s1, v43, vcc_lo
	v_lshlrev_b64 v[40:41], 2, v[40:41]
	global_load_dword v39, v[38:39], off
	v_add_nc_u32_e32 v46, 40, v3
	global_load_dword v38, v[42:43], off
	v_add_co_u32 v42, vcc_lo, s0, v44
	v_add_co_ci_u32_e64 v43, null, s1, v45, vcc_lo
	v_add_co_u32 v40, vcc_lo, s0, v40
	v_add_co_ci_u32_e64 v41, null, s1, v41, vcc_lo
	s_clause 0x1
	global_load_dword v56, v[42:43], off
	global_load_dword v57, v[40:41], off
	v_mov_b32_e32 v41, v4
	v_add_nc_u32_e32 v40, 16, v3
	v_mov_b32_e32 v43, v4
	v_add_nc_u32_e32 v42, 24, v3
	;; [unrolled: 2-line block ×3, first 2 shown]
	v_lshlrev_b64 v[40:41], 2, v[40:41]
	v_add_nc_u32_e32 v48, 48, v3
	v_lshlrev_b64 v[42:43], 2, v[42:43]
	s_add_u32 s22, s12, s16
	v_lshlrev_b64 v[44:45], 2, v[44:45]
	v_mov_b32_e32 v51, v4
	s_addc_u32 s23, s13, s17
	s_clause 0x5
	s_load_dword s27, s[6:7], 0x0
	s_load_dword s26, s[4:5], 0x0
	s_load_dwordx4 s[4:7], s[22:23], 0x0
	s_load_dwordx2 s[20:21], s[22:23], 0x10
	s_load_dword s25, s[22:23], 0x18
	s_load_dwordx4 s[8:11], s[22:23], 0xc4
	v_add_nc_u32_e32 v50, 56, v3
	v_lshlrev_b64 v[46:47], 2, v[46:47]
	v_add_co_u32 v40, vcc_lo, s0, v40
	v_mov_b32_e32 v53, v4
	v_add_nc_u32_e32 v52, 64, v3
	v_lshlrev_b64 v[48:49], 2, v[48:49]
	v_add_co_ci_u32_e64 v41, null, s1, v41, vcc_lo
	v_add_co_u32 v42, vcc_lo, s0, v42
	v_lshlrev_b64 v[50:51], 2, v[50:51]
	v_add_co_ci_u32_e64 v43, null, s1, v43, vcc_lo
	v_add_co_u32 v44, vcc_lo, s0, v44
	;; [unrolled: 3-line block ×3, first 2 shown]
	v_add_co_ci_u32_e64 v47, null, s1, v47, vcc_lo
	v_add_co_u32 v48, vcc_lo, s0, v48
	v_add_co_ci_u32_e64 v49, null, s1, v49, vcc_lo
	v_add_co_u32 v50, vcc_lo, s0, v50
	;; [unrolled: 2-line block ×3, first 2 shown]
	v_add_co_ci_u32_e64 v53, null, s1, v53, vcc_lo
	s_clause 0x6
	global_load_dword v40, v[40:41], off
	global_load_dword v41, v[42:43], off
	;; [unrolled: 1-line block ×7, first 2 shown]
	s_add_u32 s18, s18, 4
	v_add_nc_u32_e32 v36, 16, v36
	s_addc_u32 s19, s19, 0
	v_add_nc_u32_e32 v37, 0x70, v37
	s_add_u32 s16, s16, 28
	s_addc_u32 s17, s17, 0
	s_cmpk_eq_i32 s16, 0xc4
	s_waitcnt vmcnt(8) lgkmcnt(0)
	v_fma_f32 v46, -s27, v56, v55
	s_waitcnt vmcnt(7)
	v_fmac_f32_e32 v54, s27, v57
	v_fmac_f32_e32 v46, s4, v39
	v_fma_f32 v47, -v39, s8, v54
	v_fmac_f32_e32 v46, s26, v57
	v_fmac_f32_e32 v47, s26, v56
	v_fma_f32 v46, -v38, s8, v46
	v_fma_f32 v47, -v38, s4, v47
	global_store_dword v[7:8], v46, off
	global_load_dword v46, v[9:10], off
	global_store_dword v[5:6], v47, off
	global_load_dword v47, v[11:12], off
	s_waitcnt vmcnt(1)
	v_fmac_f32_e32 v46, s27, v41
	s_waitcnt vmcnt(0)
	v_fma_f32 v47, -s27, v40, v47
	v_fma_f32 v46, -v39, s9, v46
	v_fmac_f32_e32 v47, s5, v39
	v_fmac_f32_e32 v46, s26, v40
	;; [unrolled: 1-line block ×3, first 2 shown]
	v_fma_f32 v40, -v38, s5, v46
	v_fma_f32 v41, -v38, s9, v47
	global_store_dword v[9:10], v40, off
	global_store_dword v[11:12], v41, off
	s_clause 0x1
	global_load_dword v40, v[13:14], off
	global_load_dword v41, v[15:16], off
	s_waitcnt vmcnt(1)
	v_fmac_f32_e32 v40, s27, v43
	s_waitcnt vmcnt(0)
	v_fma_f32 v41, -s27, v42, v41
	v_fma_f32 v40, -v39, s10, v40
	v_fmac_f32_e32 v41, s6, v39
	v_fmac_f32_e32 v40, s26, v42
	;; [unrolled: 1-line block ×3, first 2 shown]
	v_fma_f32 v40, -v38, s6, v40
	v_fma_f32 v41, -v38, s10, v41
	global_store_dword v[13:14], v40, off
	global_store_dword v[15:16], v41, off
	s_clause 0x1
	global_load_dword v42, v[17:18], off
	global_load_dword v43, v[19:20], off
	v_mov_b32_e32 v41, v4
	v_add_nc_u32_e32 v40, 0x48, v3
	v_lshlrev_b64 v[40:41], 2, v[40:41]
	v_add_co_u32 v40, vcc_lo, s0, v40
	v_add_co_ci_u32_e64 v41, null, s1, v41, vcc_lo
	global_load_dword v49, v[40:41], off
	s_waitcnt vmcnt(2)
	v_fmac_f32_e32 v42, s27, v45
	s_waitcnt vmcnt(1)
	v_fma_f32 v40, -s27, v44, v43
	v_mov_b32_e32 v43, v4
	v_fma_f32 v41, -v39, s11, v42
	v_fmac_f32_e32 v40, s7, v39
	v_add_nc_u32_e32 v42, 0x58, v3
	v_fmac_f32_e32 v41, s26, v44
	v_fmac_f32_e32 v40, s26, v45
	v_mov_b32_e32 v45, v4
	v_add_nc_u32_e32 v44, 0x60, v3
	v_lshlrev_b64 v[42:43], 2, v[42:43]
	v_fma_f32 v41, -v38, s7, v41
	v_fma_f32 v40, -v38, s11, v40
	global_store_dword v[17:18], v41, off
	global_store_dword v[19:20], v40, off
	s_clause 0x1
	global_load_dword v50, v[21:22], off
	global_load_dword v51, v[23:24], off
	v_mov_b32_e32 v41, v4
	v_add_nc_u32_e32 v40, 0x50, v3
	s_clause 0x1
	s_load_dword s6, s[22:23], 0xdc
	s_load_dwordx2 s[4:5], s[22:23], 0xd4
	v_add_nc_u32_e32 v3, 0x68, v3
	v_lshlrev_b64 v[44:45], 2, v[44:45]
	v_lshlrev_b64 v[40:41], 2, v[40:41]
	;; [unrolled: 1-line block ×3, first 2 shown]
	v_add_co_u32 v40, vcc_lo, s0, v40
	v_add_co_ci_u32_e64 v41, null, s1, v41, vcc_lo
	v_add_co_u32 v42, vcc_lo, s0, v42
	v_add_co_ci_u32_e64 v43, null, s1, v43, vcc_lo
	;; [unrolled: 2-line block ×4, first 2 shown]
	s_clause 0x3
	global_load_dword v3, v[40:41], off
	global_load_dword v40, v[42:43], off
	;; [unrolled: 1-line block ×4, first 2 shown]
	s_waitcnt vmcnt(5)
	v_fmac_f32_e32 v50, s27, v49
	s_waitcnt vmcnt(4)
	v_fma_f32 v43, -s27, v48, v51
	s_waitcnt lgkmcnt(0)
	v_fma_f32 v44, -v39, s4, v50
	v_fmac_f32_e32 v43, s20, v39
	v_fmac_f32_e32 v44, s26, v48
	;; [unrolled: 1-line block ×3, first 2 shown]
	v_fma_f32 v44, -v38, s20, v44
	v_fma_f32 v43, -v38, s4, v43
	global_store_dword v[21:22], v44, off
	global_store_dword v[23:24], v43, off
	s_clause 0x1
	global_load_dword v43, v[25:26], off
	global_load_dword v44, v[27:28], off
	s_waitcnt vmcnt(1)
	v_fmac_f32_e32 v43, s27, v40
	s_waitcnt vmcnt(0)
	v_fma_f32 v44, -s27, v3, v44
	v_fma_f32 v43, -v39, s5, v43
	v_fmac_f32_e32 v44, s21, v39
	v_fmac_f32_e32 v43, s26, v3
	;; [unrolled: 1-line block ×3, first 2 shown]
	v_fma_f32 v3, -v38, s21, v43
	v_fma_f32 v40, -v38, s5, v44
	global_store_dword v[25:26], v3, off
	global_store_dword v[27:28], v40, off
	s_clause 0x1
	global_load_dword v3, v[29:30], off
	global_load_dword v40, v[31:32], off
	s_waitcnt vmcnt(1)
	v_fmac_f32_e32 v3, s27, v42
	s_waitcnt vmcnt(0)
	v_fma_f32 v40, -s27, v41, v40
	v_fma_f32 v3, -v39, s6, v3
	v_fmac_f32_e32 v40, s25, v39
	v_fmac_f32_e32 v3, s26, v41
	;; [unrolled: 1-line block ×3, first 2 shown]
	v_fma_f32 v3, -v38, s25, v3
	v_fma_f32 v38, -v38, s6, v40
	global_store_dword v[29:30], v3, off
	global_store_dword v[31:32], v38, off
	s_cbranch_scc0 .LBB12_2
; %bb.3:                                ;   in Loop: Header=BB12_1 Depth=1
	s_add_i32 s24, s24, 1
	v_add_nc_u32_e32 v35, 0x70, v35
	s_add_u32 s14, s14, 28
	s_addc_u32 s15, s15, 0
	s_cmp_eq_u32 s24, 7
	s_cbranch_scc0 .LBB12_1
; %bb.4:
	s_endpgm
	.section	.rodata,"a",@progbits
	.p2align	6, 0x0
	.amdhsa_kernel _Z25comm_aosoa_constants_permPK15HIP_vector_typeIfLj2EEPS0_S2_
		.amdhsa_group_segment_fixed_size 0
		.amdhsa_private_segment_fixed_size 0
		.amdhsa_kernarg_size 24
		.amdhsa_user_sgpr_count 6
		.amdhsa_user_sgpr_private_segment_buffer 1
		.amdhsa_user_sgpr_dispatch_ptr 0
		.amdhsa_user_sgpr_queue_ptr 0
		.amdhsa_user_sgpr_kernarg_segment_ptr 1
		.amdhsa_user_sgpr_dispatch_id 0
		.amdhsa_user_sgpr_flat_scratch_init 0
		.amdhsa_user_sgpr_private_segment_size 0
		.amdhsa_wavefront_size32 1
		.amdhsa_uses_dynamic_stack 0
		.amdhsa_system_sgpr_private_segment_wavefront_offset 0
		.amdhsa_system_sgpr_workgroup_id_x 1
		.amdhsa_system_sgpr_workgroup_id_y 1
		.amdhsa_system_sgpr_workgroup_id_z 0
		.amdhsa_system_sgpr_workgroup_info 0
		.amdhsa_system_vgpr_workitem_id 1
		.amdhsa_next_free_vgpr 58
		.amdhsa_next_free_sgpr 28
		.amdhsa_reserve_vcc 1
		.amdhsa_reserve_flat_scratch 0
		.amdhsa_float_round_mode_32 0
		.amdhsa_float_round_mode_16_64 0
		.amdhsa_float_denorm_mode_32 3
		.amdhsa_float_denorm_mode_16_64 3
		.amdhsa_dx10_clamp 1
		.amdhsa_ieee_mode 1
		.amdhsa_fp16_overflow 0
		.amdhsa_workgroup_processor_mode 1
		.amdhsa_memory_ordered 1
		.amdhsa_forward_progress 1
		.amdhsa_shared_vgpr_count 0
		.amdhsa_exception_fp_ieee_invalid_op 0
		.amdhsa_exception_fp_denorm_src 0
		.amdhsa_exception_fp_ieee_div_zero 0
		.amdhsa_exception_fp_ieee_overflow 0
		.amdhsa_exception_fp_ieee_underflow 0
		.amdhsa_exception_fp_ieee_inexact 0
		.amdhsa_exception_int_div_zero 0
	.end_amdhsa_kernel
	.text
.Lfunc_end12:
	.size	_Z25comm_aosoa_constants_permPK15HIP_vector_typeIfLj2EEPS0_S2_, .Lfunc_end12-_Z25comm_aosoa_constants_permPK15HIP_vector_typeIfLj2EEPS0_S2_
                                        ; -- End function
	.set _Z25comm_aosoa_constants_permPK15HIP_vector_typeIfLj2EEPS0_S2_.num_vgpr, 58
	.set _Z25comm_aosoa_constants_permPK15HIP_vector_typeIfLj2EEPS0_S2_.num_agpr, 0
	.set _Z25comm_aosoa_constants_permPK15HIP_vector_typeIfLj2EEPS0_S2_.numbered_sgpr, 28
	.set _Z25comm_aosoa_constants_permPK15HIP_vector_typeIfLj2EEPS0_S2_.num_named_barrier, 0
	.set _Z25comm_aosoa_constants_permPK15HIP_vector_typeIfLj2EEPS0_S2_.private_seg_size, 0
	.set _Z25comm_aosoa_constants_permPK15HIP_vector_typeIfLj2EEPS0_S2_.uses_vcc, 1
	.set _Z25comm_aosoa_constants_permPK15HIP_vector_typeIfLj2EEPS0_S2_.uses_flat_scratch, 0
	.set _Z25comm_aosoa_constants_permPK15HIP_vector_typeIfLj2EEPS0_S2_.has_dyn_sized_stack, 0
	.set _Z25comm_aosoa_constants_permPK15HIP_vector_typeIfLj2EEPS0_S2_.has_recursion, 0
	.set _Z25comm_aosoa_constants_permPK15HIP_vector_typeIfLj2EEPS0_S2_.has_indirect_call, 0
	.section	.AMDGPU.csdata,"",@progbits
; Kernel info:
; codeLenInByte = 2008
; TotalNumSgprs: 30
; NumVgprs: 58
; ScratchSize: 0
; MemoryBound: 0
; FloatMode: 240
; IeeeMode: 1
; LDSByteSize: 0 bytes/workgroup (compile time only)
; SGPRBlocks: 0
; VGPRBlocks: 7
; NumSGPRsForWavesPerEU: 30
; NumVGPRsForWavesPerEU: 58
; Occupancy: 16
; WaveLimiterHint : 1
; COMPUTE_PGM_RSRC2:SCRATCH_EN: 0
; COMPUTE_PGM_RSRC2:USER_SGPR: 6
; COMPUTE_PGM_RSRC2:TRAP_HANDLER: 0
; COMPUTE_PGM_RSRC2:TGID_X_EN: 1
; COMPUTE_PGM_RSRC2:TGID_Y_EN: 1
; COMPUTE_PGM_RSRC2:TGID_Z_EN: 0
; COMPUTE_PGM_RSRC2:TIDIG_COMP_CNT: 1
	.text
	.protected	_Z17comm_aosoa_directPK15HIP_vector_typeIfLj2EEPS0_S2_i ; -- Begin function _Z17comm_aosoa_directPK15HIP_vector_typeIfLj2EEPS0_S2_i
	.globl	_Z17comm_aosoa_directPK15HIP_vector_typeIfLj2EEPS0_S2_i
	.p2align	8
	.type	_Z17comm_aosoa_directPK15HIP_vector_typeIfLj2EEPS0_S2_i,@function
_Z17comm_aosoa_directPK15HIP_vector_typeIfLj2EEPS0_S2_i: ; @_Z17comm_aosoa_directPK15HIP_vector_typeIfLj2EEPS0_S2_i
; %bb.0:
	s_load_dword s6, s[4:5], 0x18
	s_waitcnt lgkmcnt(0)
	s_cmp_lt_i32 s6, 1
	s_cbranch_scc1 .LBB13_7
; %bb.1:
	s_clause 0x1
	s_load_dwordx2 s[8:9], s[4:5], 0x10
	s_load_dwordx4 s[0:3], s[4:5], 0x0
	v_lshl_add_u32 v1, s7, 6, v1
	s_lshl_b32 s22, s6, 4
	s_mov_b32 s5, 0
	s_mul_i32 s4, s22, s6
	v_add_nc_u32_e32 v7, 8, v0
	v_mul_lo_u32 v8, v1, s4
	v_mov_b32_e32 v2, 0
	v_mov_b32_e32 v9, v0
	s_mul_i32 s23, s6, s6
	s_mov_b32 s7, s5
	s_mov_b32 s24, s23
	s_lshl_b64 s[10:11], s[6:7], 2
	s_mov_b32 s7, 0
	s_waitcnt lgkmcnt(0)
	s_mov_b64 s[12:13], s[8:9]
.LBB13_2:                               ; =>This Loop Header: Depth=1
                                        ;     Child Loop BB13_3 Depth 2
                                        ;       Child Loop BB13_4 Depth 3
	v_mov_b32_e32 v10, v0
	s_mul_i32 s25, s7, s6
	s_mov_b64 s[14:15], s[8:9]
	s_mov_b32 s26, s23
	s_mov_b32 s27, s5
.LBB13_3:                               ;   Parent Loop BB13_2 Depth=1
                                        ; =>  This Loop Header: Depth=2
                                        ;       Child Loop BB13_4 Depth 3
	s_add_i32 s4, s27, s25
	v_mov_b32_e32 v12, v9
	v_lshl_add_u32 v5, s4, 4, v8
	v_mov_b32_e32 v13, v10
	s_mov_b32 s28, 0
	s_mov_b64 s[16:17], s[12:13]
	s_mov_b64 s[18:19], s[14:15]
	v_add_nc_u32_e32 v1, v7, v5
	s_mov_b32 s20, s26
	v_lshlrev_b64 v[3:4], 2, v[1:2]
	v_add_nc_u32_e32 v1, v5, v0
	v_lshlrev_b64 v[5:6], 2, v[1:2]
	v_add_co_u32 v3, vcc_lo, s2, v3
	v_add_co_ci_u32_e64 v4, null, s3, v4, vcc_lo
	v_add_co_u32 v5, vcc_lo, s2, v5
	v_add_co_ci_u32_e64 v6, null, s3, v6, vcc_lo
	s_clause 0x1
	global_load_dword v14, v[3:4], off
	global_load_dword v11, v[5:6], off
.LBB13_4:                               ;   Parent Loop BB13_2 Depth=1
                                        ;     Parent Loop BB13_3 Depth=2
                                        ; =>    This Inner Loop Header: Depth=3
	v_add_nc_u32_e32 v1, v8, v13
	v_add_nc_u32_e32 v15, v8, v12
	v_mov_b32_e32 v16, v2
	s_add_i32 s4, s24, s28
	v_add_nc_u32_e32 v13, s22, v13
	v_lshlrev_b64 v[17:18], 2, v[1:2]
	v_add_nc_u32_e32 v1, 8, v1
	v_lshlrev_b64 v[19:20], 2, v[15:16]
	s_lshl_b64 s[30:31], s[4:5], 2
	v_add_nc_u32_e32 v12, 16, v12
	s_add_u32 s30, s8, s30
	v_lshlrev_b64 v[21:22], 2, v[1:2]
	v_add_nc_u32_e32 v1, 8, v15
	v_add_co_u32 v15, vcc_lo, s0, v17
	v_add_co_ci_u32_e64 v16, null, s1, v18, vcc_lo
	v_add_co_u32 v17, vcc_lo, s0, v21
	v_add_co_ci_u32_e64 v18, null, s1, v22, vcc_lo
	v_add_co_u32 v19, vcc_lo, s0, v19
	v_add_co_ci_u32_e64 v20, null, s1, v20, vcc_lo
	s_clause 0x1
	global_load_dword v21, v[15:16], off
	global_load_dword v17, v[17:18], off
	v_lshlrev_b64 v[15:16], 2, v[1:2]
	s_addc_u32 s31, s9, s31
	global_load_dword v1, v[19:20], off
	s_ashr_i32 s21, s20, 31
	s_load_dword s4, s[16:17], 0x0
	s_lshl_b64 s[34:35], s[20:21], 2
	v_add_co_u32 v15, vcc_lo, s0, v15
	v_add_co_ci_u32_e64 v16, null, s1, v16, vcc_lo
	s_add_u32 s34, s8, s34
	s_addc_u32 s35, s9, s35
	s_add_i32 s28, s28, 1
	global_load_dword v15, v[15:16], off
	s_load_dword s21, s[18:19], 0x0
	s_clause 0x1
	s_load_dword s29, s[34:35], 0x0
	s_load_dword s30, s[30:31], 0x0
	s_add_i32 s20, s20, s6
	s_add_u32 s18, s18, s10
	s_addc_u32 s19, s19, s11
	s_add_u32 s16, s16, 4
	s_addc_u32 s17, s17, 0
	s_cmp_eq_u32 s6, s28
	s_waitcnt vmcnt(3) lgkmcnt(0)
	v_fma_f32 v14, -s4, v21, v14
	s_waitcnt vmcnt(2)
	v_fmac_f32_e32 v11, s4, v17
	s_waitcnt vmcnt(1)
	v_fmac_f32_e32 v14, s21, v1
	v_fma_f32 v1, -v1, s29, v11
	v_fmac_f32_e32 v14, s30, v17
	v_fmac_f32_e32 v1, s30, v21
	s_waitcnt vmcnt(0)
	v_fma_f32 v14, -v15, s29, v14
	v_fma_f32 v11, -s21, v15, v1
	s_cbranch_scc0 .LBB13_4
; %bb.5:                                ;   in Loop: Header=BB13_3 Depth=2
	s_add_i32 s27, s27, 1
	s_add_i32 s26, s26, 1
	v_add_nc_u32_e32 v10, 16, v10
	s_add_u32 s14, s14, 4
	s_addc_u32 s15, s15, 0
	s_cmp_eq_u32 s27, s6
	global_store_dword v[3:4], v14, off
	global_store_dword v[5:6], v11, off
	s_cbranch_scc0 .LBB13_3
; %bb.6:                                ;   in Loop: Header=BB13_2 Depth=1
	s_add_i32 s7, s7, 1
	s_add_i32 s24, s24, s6
	v_add_nc_u32_e32 v9, s22, v9
	s_add_u32 s12, s12, s10
	s_addc_u32 s13, s13, s11
	s_cmp_eq_u32 s7, s6
	s_cbranch_scc0 .LBB13_2
.LBB13_7:
	s_endpgm
	.section	.rodata,"a",@progbits
	.p2align	6, 0x0
	.amdhsa_kernel _Z17comm_aosoa_directPK15HIP_vector_typeIfLj2EEPS0_S2_i
		.amdhsa_group_segment_fixed_size 0
		.amdhsa_private_segment_fixed_size 0
		.amdhsa_kernarg_size 28
		.amdhsa_user_sgpr_count 6
		.amdhsa_user_sgpr_private_segment_buffer 1
		.amdhsa_user_sgpr_dispatch_ptr 0
		.amdhsa_user_sgpr_queue_ptr 0
		.amdhsa_user_sgpr_kernarg_segment_ptr 1
		.amdhsa_user_sgpr_dispatch_id 0
		.amdhsa_user_sgpr_flat_scratch_init 0
		.amdhsa_user_sgpr_private_segment_size 0
		.amdhsa_wavefront_size32 1
		.amdhsa_uses_dynamic_stack 0
		.amdhsa_system_sgpr_private_segment_wavefront_offset 0
		.amdhsa_system_sgpr_workgroup_id_x 1
		.amdhsa_system_sgpr_workgroup_id_y 1
		.amdhsa_system_sgpr_workgroup_id_z 0
		.amdhsa_system_sgpr_workgroup_info 0
		.amdhsa_system_vgpr_workitem_id 1
		.amdhsa_next_free_vgpr 23
		.amdhsa_next_free_sgpr 36
		.amdhsa_reserve_vcc 1
		.amdhsa_reserve_flat_scratch 0
		.amdhsa_float_round_mode_32 0
		.amdhsa_float_round_mode_16_64 0
		.amdhsa_float_denorm_mode_32 3
		.amdhsa_float_denorm_mode_16_64 3
		.amdhsa_dx10_clamp 1
		.amdhsa_ieee_mode 1
		.amdhsa_fp16_overflow 0
		.amdhsa_workgroup_processor_mode 1
		.amdhsa_memory_ordered 1
		.amdhsa_forward_progress 1
		.amdhsa_shared_vgpr_count 0
		.amdhsa_exception_fp_ieee_invalid_op 0
		.amdhsa_exception_fp_denorm_src 0
		.amdhsa_exception_fp_ieee_div_zero 0
		.amdhsa_exception_fp_ieee_overflow 0
		.amdhsa_exception_fp_ieee_underflow 0
		.amdhsa_exception_fp_ieee_inexact 0
		.amdhsa_exception_int_div_zero 0
	.end_amdhsa_kernel
	.text
.Lfunc_end13:
	.size	_Z17comm_aosoa_directPK15HIP_vector_typeIfLj2EEPS0_S2_i, .Lfunc_end13-_Z17comm_aosoa_directPK15HIP_vector_typeIfLj2EEPS0_S2_i
                                        ; -- End function
	.set _Z17comm_aosoa_directPK15HIP_vector_typeIfLj2EEPS0_S2_i.num_vgpr, 23
	.set _Z17comm_aosoa_directPK15HIP_vector_typeIfLj2EEPS0_S2_i.num_agpr, 0
	.set _Z17comm_aosoa_directPK15HIP_vector_typeIfLj2EEPS0_S2_i.numbered_sgpr, 36
	.set _Z17comm_aosoa_directPK15HIP_vector_typeIfLj2EEPS0_S2_i.num_named_barrier, 0
	.set _Z17comm_aosoa_directPK15HIP_vector_typeIfLj2EEPS0_S2_i.private_seg_size, 0
	.set _Z17comm_aosoa_directPK15HIP_vector_typeIfLj2EEPS0_S2_i.uses_vcc, 1
	.set _Z17comm_aosoa_directPK15HIP_vector_typeIfLj2EEPS0_S2_i.uses_flat_scratch, 0
	.set _Z17comm_aosoa_directPK15HIP_vector_typeIfLj2EEPS0_S2_i.has_dyn_sized_stack, 0
	.set _Z17comm_aosoa_directPK15HIP_vector_typeIfLj2EEPS0_S2_i.has_recursion, 0
	.set _Z17comm_aosoa_directPK15HIP_vector_typeIfLj2EEPS0_S2_i.has_indirect_call, 0
	.section	.AMDGPU.csdata,"",@progbits
; Kernel info:
; codeLenInByte = 640
; TotalNumSgprs: 38
; NumVgprs: 23
; ScratchSize: 0
; MemoryBound: 0
; FloatMode: 240
; IeeeMode: 1
; LDSByteSize: 0 bytes/workgroup (compile time only)
; SGPRBlocks: 0
; VGPRBlocks: 2
; NumSGPRsForWavesPerEU: 38
; NumVGPRsForWavesPerEU: 23
; Occupancy: 16
; WaveLimiterHint : 0
; COMPUTE_PGM_RSRC2:SCRATCH_EN: 0
; COMPUTE_PGM_RSRC2:USER_SGPR: 6
; COMPUTE_PGM_RSRC2:TRAP_HANDLER: 0
; COMPUTE_PGM_RSRC2:TGID_X_EN: 1
; COMPUTE_PGM_RSRC2:TGID_Y_EN: 1
; COMPUTE_PGM_RSRC2:TGID_Z_EN: 0
; COMPUTE_PGM_RSRC2:TIDIG_COMP_CNT: 1
	.text
	.protected	_Z27comm_aosoa_constants_directPK15HIP_vector_typeIfLj2EEPS0_S2_ ; -- Begin function _Z27comm_aosoa_constants_directPK15HIP_vector_typeIfLj2EEPS0_S2_
	.globl	_Z27comm_aosoa_constants_directPK15HIP_vector_typeIfLj2EEPS0_S2_
	.p2align	8
	.type	_Z27comm_aosoa_constants_directPK15HIP_vector_typeIfLj2EEPS0_S2_,@function
_Z27comm_aosoa_constants_directPK15HIP_vector_typeIfLj2EEPS0_S2_: ; @_Z27comm_aosoa_constants_directPK15HIP_vector_typeIfLj2EEPS0_S2_
; %bb.0:
	s_clause 0x1
	s_load_dwordx2 s[12:13], s[4:5], 0x10
	s_load_dwordx4 s[0:3], s[4:5], 0x0
	s_mul_i32 s4, s7, 0xc400
	v_lshl_add_u32 v3, s7, 6, v1
	v_or_b32_e32 v2, s4, v0
	v_add_nc_u32_e32 v5, 8, v0
	s_mov_b32 s15, 0
	s_mov_b32 s24, 0
	v_mad_u32_u24 v4, 0x310, v1, v2
	v_mul_lo_u32 v1, 0x310, v3
	v_mov_b32_e32 v3, 0
	v_mov_b32_e32 v6, v4
	s_waitcnt lgkmcnt(0)
	s_add_u32 s16, s12, 0x16c
	s_addc_u32 s17, s13, 0
.LBB14_1:                               ; =>This Loop Header: Depth=1
                                        ;     Child Loop BB14_2 Depth 2
	v_mad_u64_u32 v[7:8], null, 0x70, s24, v[1:2]
	s_mul_i32 s14, s24, 7
	s_mov_b32 s26, 0
	s_lshl_b64 s[4:5], s[14:15], 2
	s_add_u32 s22, s12, s4
	s_addc_u32 s23, s13, s5
	v_add_nc_u32_e32 v2, v7, v0
	s_lshl_b32 s4, s14, 4
	v_add3_u32 v14, s4, 16, v1
	v_add3_u32 v18, s4, 32, v1
	v_lshlrev_b64 v[8:9], 2, v[2:3]
	v_add_nc_u32_e32 v2, v5, v7
	v_add3_u32 v22, s4, 48, v1
	v_add3_u32 v25, s4, 64, v1
	v_lshlrev_b64 v[10:11], 2, v[2:3]
	v_add_nc_u32_e32 v2, v14, v0
	v_add_co_u32 v7, vcc_lo, s0, v8
	v_add_co_ci_u32_e64 v8, null, s1, v9, vcc_lo
	v_lshlrev_b64 v[12:13], 2, v[2:3]
	v_add_nc_u32_e32 v2, v5, v14
	v_add_co_u32 v9, vcc_lo, s0, v10
	v_add_co_ci_u32_e64 v10, null, s1, v11, vcc_lo
	;; [unrolled: 4-line block ×7, first 2 shown]
	v_add_co_u32 v21, vcc_lo, s0, v22
	v_add_co_ci_u32_e64 v22, null, s1, v23, vcc_lo
	v_lshlrev_b64 v[23:24], 2, v[2:3]
	v_add_nc_u32_e32 v2, v5, v25
	v_add3_u32 v25, 0x50, s4, v1
	s_clause 0x7
	global_load_dword v7, v[7:8], off
	global_load_dword v8, v[9:10], off
	;; [unrolled: 1-line block ×8, first 2 shown]
	v_lshlrev_b64 v[15:16], 2, v[2:3]
	v_add_nc_u32_e32 v2, v25, v0
	v_add_co_u32 v17, vcc_lo, s0, v23
	v_add_co_ci_u32_e64 v18, null, s1, v24, vcc_lo
	v_lshlrev_b64 v[19:20], 2, v[2:3]
	v_add_nc_u32_e32 v2, v5, v25
	v_add3_u32 v25, 0x60, s4, v1
	v_add_co_u32 v21, vcc_lo, s0, v15
	v_add_co_ci_u32_e64 v22, null, s1, v16, vcc_lo
	v_lshlrev_b64 v[15:16], 2, v[2:3]
	v_add_nc_u32_e32 v2, v25, v0
	v_add_co_u32 v19, vcc_lo, s0, v19
	v_add_co_ci_u32_e64 v20, null, s1, v20, vcc_lo
	v_lshlrev_b64 v[23:24], 2, v[2:3]
	v_add_nc_u32_e32 v2, v5, v25
	v_add_co_u32 v25, vcc_lo, s0, v15
	v_add_co_ci_u32_e64 v26, null, s1, v16, vcc_lo
	v_lshlrev_b64 v[15:16], 2, v[2:3]
	v_add_co_u32 v23, vcc_lo, s0, v23
	v_add_co_ci_u32_e64 v24, null, s1, v24, vcc_lo
	v_add_co_u32 v27, vcc_lo, s0, v15
	v_add_co_ci_u32_e64 v28, null, s1, v16, vcc_lo
	s_clause 0x5
	global_load_dword v15, v[17:18], off
	global_load_dword v16, v[21:22], off
	;; [unrolled: 1-line block ×6, first 2 shown]
	s_clause 0x5
	s_load_dwordx4 s[4:7], s[22:23], 0x0
	s_load_dwordx2 s[18:19], s[22:23], 0x10
	s_load_dword s14, s[22:23], 0x18
	s_load_dwordx4 s[8:11], s[22:23], 0xc4
	s_load_dwordx2 s[20:21], s[22:23], 0xd4
	s_load_dword s25, s[22:23], 0xdc
	s_mov_b64 s[22:23], s[16:17]
.LBB14_2:                               ;   Parent Loop BB14_1 Depth=1
                                        ; =>  This Inner Loop Header: Depth=2
	v_add_nc_u32_e32 v21, s26, v6
	v_mov_b32_e32 v22, v3
	v_mov_b32_e32 v23, v3
	;; [unrolled: 1-line block ×4, first 2 shown]
	v_add_nc_u32_e32 v2, 8, v21
	v_lshlrev_b64 v[21:22], 2, v[21:22]
	v_mov_b32_e32 v27, v3
	v_mov_b32_e32 v29, v3
	;; [unrolled: 1-line block ×3, first 2 shown]
	v_lshlrev_b64 v[39:40], 2, v[2:3]
	v_add_nc_u32_e32 v2, s26, v4
	v_add_co_u32 v41, vcc_lo, s2, v21
	v_add_co_ci_u32_e64 v42, null, s3, v22, vcc_lo
	v_add_nc_u32_e32 v22, 8, v2
	v_lshlrev_b64 v[43:44], 2, v[2:3]
	v_add_co_u32 v39, vcc_lo, s2, v39
	v_add_co_ci_u32_e64 v40, null, s3, v40, vcc_lo
	v_lshlrev_b64 v[21:22], 2, v[22:23]
	v_add_co_u32 v43, vcc_lo, s0, v43
	v_add_co_ci_u32_e64 v44, null, s1, v44, vcc_lo
	v_add_nc_u32_e32 v23, 0x70, v2
	v_add_co_u32 v21, vcc_lo, s0, v21
	v_add_co_ci_u32_e64 v22, null, s1, v22, vcc_lo
	s_clause 0x1
	global_load_dword v45, v[39:40], off
	global_load_dword v46, v[41:42], off
	s_clause 0x1
	global_load_dword v43, v[43:44], off
	global_load_dword v44, v[21:22], off
	v_add_nc_u32_e32 v25, 0x78, v2
	v_lshlrev_b64 v[21:22], 2, v[23:24]
	v_add_nc_u32_e32 v28, 0xe8, v2
	v_mov_b32_e32 v32, v3
	v_add_nc_u32_e32 v31, 0x158, v2
	v_lshlrev_b64 v[23:24], 2, v[25:26]
	v_add_nc_u32_e32 v26, 0xe0, v2
	v_add_co_u32 v21, vcc_lo, s0, v21
	v_add_co_ci_u32_e64 v22, null, s1, v22, vcc_lo
	v_add_co_u32 v23, vcc_lo, s0, v23
	v_add_co_ci_u32_e64 v24, null, s1, v24, vcc_lo
	s_clause 0x1
	global_load_dword v47, v[21:22], off
	global_load_dword v48, v[23:24], off
	v_lshlrev_b64 v[21:22], 2, v[26:27]
	v_lshlrev_b64 v[23:24], 2, v[28:29]
	v_add_nc_u32_e32 v29, 0x150, v2
	v_mov_b32_e32 v33, v3
	v_mov_b32_e32 v35, v3
	v_add_nc_u32_e32 v34, 0x1c8, v2
	v_add_co_u32 v21, vcc_lo, s0, v21
	v_add_co_ci_u32_e64 v22, null, s1, v22, vcc_lo
	v_add_co_u32 v23, vcc_lo, s0, v23
	v_add_co_ci_u32_e64 v24, null, s1, v24, vcc_lo
	s_clause 0x1
	global_load_dword v26, v[21:22], off
	global_load_dword v27, v[23:24], off
	v_lshlrev_b64 v[21:22], 2, v[29:30]
	v_lshlrev_b64 v[23:24], 2, v[31:32]
	v_add_nc_u32_e32 v32, 0x1c0, v2
	v_mov_b32_e32 v36, v3
	v_mov_b32_e32 v38, v3
	v_add_nc_u32_e32 v37, 0x238, v2
	v_add_co_u32 v21, vcc_lo, s0, v21
	v_add_co_ci_u32_e64 v22, null, s1, v22, vcc_lo
	v_add_co_u32 v23, vcc_lo, s0, v23
	v_add_co_ci_u32_e64 v24, null, s1, v24, vcc_lo
	s_clause 0x1
	global_load_dword v28, v[21:22], off
	global_load_dword v29, v[23:24], off
	v_lshlrev_b64 v[21:22], 2, v[32:33]
	v_lshlrev_b64 v[23:24], 2, v[34:35]
	v_add_nc_u32_e32 v35, 0x230, v2
	v_mov_b32_e32 v25, v3
	s_add_u32 s28, s22, 0xfffffe94
	s_addc_u32 s29, s23, -1
	v_add_co_u32 v21, vcc_lo, s0, v21
	v_add_co_ci_u32_e64 v22, null, s1, v22, vcc_lo
	v_add_co_u32 v23, vcc_lo, s0, v23
	v_add_co_ci_u32_e64 v24, null, s1, v24, vcc_lo
	s_clause 0x1
	global_load_dword v30, v[21:22], off
	global_load_dword v31, v[23:24], off
	v_lshlrev_b64 v[21:22], 2, v[35:36]
	v_lshlrev_b64 v[23:24], 2, v[37:38]
	s_add_u32 s30, s22, 0xffffff58
	s_addc_u32 s31, s23, -1
	v_add_co_u32 v21, vcc_lo, s0, v21
	v_add_co_ci_u32_e64 v22, null, s1, v22, vcc_lo
	v_add_co_u32 v23, vcc_lo, s0, v23
	v_add_co_ci_u32_e64 v24, null, s1, v24, vcc_lo
	s_clause 0x1
	global_load_dword v32, v[21:22], off
	global_load_dword v33, v[23:24], off
	v_add_nc_u32_e32 v24, 0x2a0, v2
	v_add_nc_u32_e32 v2, 0x2a8, v2
	v_lshlrev_b64 v[21:22], 2, v[24:25]
	v_lshlrev_b64 v[23:24], 2, v[2:3]
	v_add_co_u32 v21, vcc_lo, s0, v21
	v_add_co_ci_u32_e64 v22, null, s1, v22, vcc_lo
	v_add_co_u32 v23, vcc_lo, s0, v23
	v_add_co_ci_u32_e64 v24, null, s1, v24, vcc_lo
	s_clause 0x1
	global_load_dword v2, v[21:22], off
	global_load_dword v21, v[23:24], off
	s_clause 0x1
	s_load_dword s27, s[28:29], 0x0
	s_load_dword s33, s[30:31], 0x0
	s_add_u32 s28, s22, 0xfffffeb0
	s_addc_u32 s29, s23, -1
	s_add_u32 s30, s22, 0xffffff74
	s_addc_u32 s31, s23, -1
	s_clause 0x1
	s_load_dword s34, s[28:29], 0x0
	s_load_dword s35, s[30:31], 0x0
	s_add_u32 s28, s22, 0xfffffecc
	s_addc_u32 s29, s23, -1
	s_add_u32 s30, s22, 0xffffff90
	s_addc_u32 s31, s23, -1
	s_waitcnt vmcnt(13) lgkmcnt(0)
	v_fma_f32 v22, -s4, v43, v45
	s_waitcnt vmcnt(12)
	v_fmac_f32_e32 v46, s4, v44
	v_fmac_f32_e32 v22, s27, v7
	v_fma_f32 v23, -v7, s33, v46
	v_fmac_f32_e32 v22, s8, v44
	v_fmac_f32_e32 v23, s8, v43
	v_fma_f32 v22, -v8, s33, v22
	v_fma_f32 v23, -s27, v8, v23
	s_clause 0x1
	s_load_dword s27, s[28:29], 0x0
	s_load_dword s33, s[30:31], 0x0
	s_add_u32 s28, s22, 0xfffffee8
	s_addc_u32 s29, s23, -1
	s_waitcnt vmcnt(11)
	v_fma_f32 v22, -s5, v47, v22
	s_waitcnt vmcnt(10)
	v_fmac_f32_e32 v23, s5, v48
	s_add_u32 s30, s22, 0xffffffac
	s_addc_u32 s31, s23, -1
	v_fmac_f32_e32 v22, s34, v9
	v_fma_f32 v23, -v9, s35, v23
	v_fmac_f32_e32 v22, s9, v48
	v_fmac_f32_e32 v23, s9, v47
	v_fma_f32 v22, -v10, s35, v22
	v_fma_f32 v23, -s34, v10, v23
	s_clause 0x1
	s_load_dword s34, s[28:29], 0x0
	s_load_dword s35, s[30:31], 0x0
	s_add_u32 s28, s22, 0xffffff04
	s_addc_u32 s29, s23, -1
	s_waitcnt vmcnt(9)
	v_fma_f32 v22, -s6, v26, v22
	s_waitcnt vmcnt(8)
	v_fmac_f32_e32 v23, s6, v27
	s_add_u32 s30, s22, 0xffffffc8
	s_addc_u32 s31, s23, -1
	s_waitcnt lgkmcnt(0)
	v_fmac_f32_e32 v22, s27, v11
	v_fma_f32 v23, -v11, s33, v23
	v_fmac_f32_e32 v22, s10, v27
	v_fmac_f32_e32 v23, s10, v26
	v_fma_f32 v22, -v12, s33, v22
	v_fma_f32 v23, -s27, v12, v23
	s_clause 0x1
	s_load_dword s27, s[28:29], 0x0
	s_load_dword s33, s[30:31], 0x0
	s_add_u32 s28, s22, 0xffffff20
	s_addc_u32 s29, s23, -1
	s_waitcnt vmcnt(7)
	v_fma_f32 v22, -s7, v28, v22
	s_waitcnt vmcnt(6)
	v_fmac_f32_e32 v23, s7, v29
	s_add_u32 s30, s22, 0xffffffe4
	s_addc_u32 s31, s23, -1
	v_fmac_f32_e32 v22, s34, v13
	v_fma_f32 v23, -v13, s35, v23
	v_fmac_f32_e32 v22, s11, v29
	v_fmac_f32_e32 v23, s11, v28
	v_fma_f32 v22, -v14, s35, v22
	v_fma_f32 v23, -s34, v14, v23
	s_clause 0x1
	s_load_dword s34, s[28:29], 0x0
	s_load_dword s30, s[30:31], 0x0
	s_add_u32 s28, s22, 0xffffff3c
	s_addc_u32 s29, s23, -1
	s_waitcnt vmcnt(5)
	v_fma_f32 v22, -s18, v30, v22
	s_waitcnt vmcnt(4)
	v_fmac_f32_e32 v23, s18, v31
	s_add_i32 s26, s26, 16
	s_load_dword s28, s[28:29], 0x0
	s_waitcnt lgkmcnt(0)
	v_fmac_f32_e32 v22, s27, v15
	v_fma_f32 v23, -v15, s33, v23
	v_fmac_f32_e32 v22, s20, v31
	v_fmac_f32_e32 v23, s20, v30
	v_fma_f32 v22, -v16, s33, v22
	v_fma_f32 v23, -s27, v16, v23
	s_load_dword s27, s[22:23], 0x0
	s_add_u32 s22, s22, 4
	s_addc_u32 s23, s23, 0
	s_waitcnt vmcnt(3)
	v_fma_f32 v22, -s19, v32, v22
	s_waitcnt vmcnt(2)
	v_fmac_f32_e32 v23, s19, v33
	s_cmpk_lg_i32 s26, 0x70
	v_fmac_f32_e32 v22, s34, v17
	v_fma_f32 v23, -v17, s30, v23
	v_fmac_f32_e32 v22, s21, v33
	v_fmac_f32_e32 v23, s21, v32
	v_fma_f32 v22, -v18, s30, v22
	v_fma_f32 v23, -s34, v18, v23
	s_waitcnt vmcnt(1)
	v_fma_f32 v22, -s14, v2, v22
	s_waitcnt vmcnt(0)
	v_fmac_f32_e32 v23, s14, v21
	v_fmac_f32_e32 v22, s28, v19
	s_waitcnt lgkmcnt(0)
	v_fma_f32 v23, -v19, s27, v23
	v_fmac_f32_e32 v22, s25, v21
	v_fmac_f32_e32 v23, s25, v2
	v_fma_f32 v2, -v20, s27, v22
	v_fma_f32 v21, -s28, v20, v23
	global_store_dword v[39:40], v2, off
	global_store_dword v[41:42], v21, off
	s_cbranch_scc1 .LBB14_2
; %bb.3:                                ;   in Loop: Header=BB14_1 Depth=1
	v_add_nc_u32_e32 v6, 0x70, v6
	s_add_i32 s24, s24, 1
	s_cmp_eq_u32 s24, 7
	s_cbranch_scc0 .LBB14_1
; %bb.4:
	s_endpgm
	.section	.rodata,"a",@progbits
	.p2align	6, 0x0
	.amdhsa_kernel _Z27comm_aosoa_constants_directPK15HIP_vector_typeIfLj2EEPS0_S2_
		.amdhsa_group_segment_fixed_size 0
		.amdhsa_private_segment_fixed_size 0
		.amdhsa_kernarg_size 24
		.amdhsa_user_sgpr_count 6
		.amdhsa_user_sgpr_private_segment_buffer 1
		.amdhsa_user_sgpr_dispatch_ptr 0
		.amdhsa_user_sgpr_queue_ptr 0
		.amdhsa_user_sgpr_kernarg_segment_ptr 1
		.amdhsa_user_sgpr_dispatch_id 0
		.amdhsa_user_sgpr_flat_scratch_init 0
		.amdhsa_user_sgpr_private_segment_size 0
		.amdhsa_wavefront_size32 1
		.amdhsa_uses_dynamic_stack 0
		.amdhsa_system_sgpr_private_segment_wavefront_offset 0
		.amdhsa_system_sgpr_workgroup_id_x 1
		.amdhsa_system_sgpr_workgroup_id_y 1
		.amdhsa_system_sgpr_workgroup_id_z 0
		.amdhsa_system_sgpr_workgroup_info 0
		.amdhsa_system_vgpr_workitem_id 1
		.amdhsa_next_free_vgpr 49
		.amdhsa_next_free_sgpr 36
		.amdhsa_reserve_vcc 1
		.amdhsa_reserve_flat_scratch 0
		.amdhsa_float_round_mode_32 0
		.amdhsa_float_round_mode_16_64 0
		.amdhsa_float_denorm_mode_32 3
		.amdhsa_float_denorm_mode_16_64 3
		.amdhsa_dx10_clamp 1
		.amdhsa_ieee_mode 1
		.amdhsa_fp16_overflow 0
		.amdhsa_workgroup_processor_mode 1
		.amdhsa_memory_ordered 1
		.amdhsa_forward_progress 1
		.amdhsa_shared_vgpr_count 0
		.amdhsa_exception_fp_ieee_invalid_op 0
		.amdhsa_exception_fp_denorm_src 0
		.amdhsa_exception_fp_ieee_div_zero 0
		.amdhsa_exception_fp_ieee_overflow 0
		.amdhsa_exception_fp_ieee_underflow 0
		.amdhsa_exception_fp_ieee_inexact 0
		.amdhsa_exception_int_div_zero 0
	.end_amdhsa_kernel
	.text
.Lfunc_end14:
	.size	_Z27comm_aosoa_constants_directPK15HIP_vector_typeIfLj2EEPS0_S2_, .Lfunc_end14-_Z27comm_aosoa_constants_directPK15HIP_vector_typeIfLj2EEPS0_S2_
                                        ; -- End function
	.set _Z27comm_aosoa_constants_directPK15HIP_vector_typeIfLj2EEPS0_S2_.num_vgpr, 49
	.set _Z27comm_aosoa_constants_directPK15HIP_vector_typeIfLj2EEPS0_S2_.num_agpr, 0
	.set _Z27comm_aosoa_constants_directPK15HIP_vector_typeIfLj2EEPS0_S2_.numbered_sgpr, 36
	.set _Z27comm_aosoa_constants_directPK15HIP_vector_typeIfLj2EEPS0_S2_.num_named_barrier, 0
	.set _Z27comm_aosoa_constants_directPK15HIP_vector_typeIfLj2EEPS0_S2_.private_seg_size, 0
	.set _Z27comm_aosoa_constants_directPK15HIP_vector_typeIfLj2EEPS0_S2_.uses_vcc, 1
	.set _Z27comm_aosoa_constants_directPK15HIP_vector_typeIfLj2EEPS0_S2_.uses_flat_scratch, 0
	.set _Z27comm_aosoa_constants_directPK15HIP_vector_typeIfLj2EEPS0_S2_.has_dyn_sized_stack, 0
	.set _Z27comm_aosoa_constants_directPK15HIP_vector_typeIfLj2EEPS0_S2_.has_recursion, 0
	.set _Z27comm_aosoa_constants_directPK15HIP_vector_typeIfLj2EEPS0_S2_.has_indirect_call, 0
	.section	.AMDGPU.csdata,"",@progbits
; Kernel info:
; codeLenInByte = 2224
; TotalNumSgprs: 38
; NumVgprs: 49
; ScratchSize: 0
; MemoryBound: 0
; FloatMode: 240
; IeeeMode: 1
; LDSByteSize: 0 bytes/workgroup (compile time only)
; SGPRBlocks: 0
; VGPRBlocks: 6
; NumSGPRsForWavesPerEU: 38
; NumVGPRsForWavesPerEU: 49
; Occupancy: 16
; WaveLimiterHint : 0
; COMPUTE_PGM_RSRC2:SCRATCH_EN: 0
; COMPUTE_PGM_RSRC2:USER_SGPR: 6
; COMPUTE_PGM_RSRC2:TRAP_HANDLER: 0
; COMPUTE_PGM_RSRC2:TGID_X_EN: 1
; COMPUTE_PGM_RSRC2:TGID_Y_EN: 1
; COMPUTE_PGM_RSRC2:TGID_Z_EN: 0
; COMPUTE_PGM_RSRC2:TIDIG_COMP_CNT: 1
	.text
	.protected	_Z32comm_aosoa_constants_direct_permPK15HIP_vector_typeIfLj2EEPS0_S2_ ; -- Begin function _Z32comm_aosoa_constants_direct_permPK15HIP_vector_typeIfLj2EEPS0_S2_
	.globl	_Z32comm_aosoa_constants_direct_permPK15HIP_vector_typeIfLj2EEPS0_S2_
	.p2align	8
	.type	_Z32comm_aosoa_constants_direct_permPK15HIP_vector_typeIfLj2EEPS0_S2_,@function
_Z32comm_aosoa_constants_direct_permPK15HIP_vector_typeIfLj2EEPS0_S2_: ; @_Z32comm_aosoa_constants_direct_permPK15HIP_vector_typeIfLj2EEPS0_S2_
; %bb.0:
	s_clause 0x1
	s_load_dwordx4 s[0:3], s[4:5], 0x0
	s_load_dwordx2 s[12:13], s[4:5], 0x10
	v_lshl_add_u32 v2, s7, 6, v1
	s_mul_i32 s7, s7, 0xc400
	v_add_nc_u32_e32 v33, 8, v0
	v_or_b32_e32 v34, s7, v0
	v_mul_u32_u24_e32 v1, 0x310, v1
	v_mul_lo_u32 v2, 0x310, v2
	v_mov_b32_e32 v4, 0
	s_mov_b64 s[14:15], 0xc4
	v_mov_b32_e32 v35, v34
	s_mov_b32 s24, 0
.LBB15_1:                               ; =>This Loop Header: Depth=1
                                        ;     Child Loop BB15_2 Depth 2
	v_mad_u64_u32 v[23:24], null, 0x70, s24, v[2:3]
	s_mov_b64 s[16:17], 0
	s_mov_b64 s[18:19], s[14:15]
	v_add_nc_u32_e32 v3, v33, v23
	v_add_nc_u32_e32 v11, 16, v23
	;; [unrolled: 1-line block ×5, first 2 shown]
	v_lshlrev_b64 v[5:6], 2, v[3:4]
	v_add_nc_u32_e32 v3, v23, v0
	v_add_nc_u32_e32 v28, 0x50, v23
	;; [unrolled: 1-line block ×3, first 2 shown]
	v_lshlrev_b64 v[7:8], 2, v[3:4]
	v_add_nc_u32_e32 v3, v33, v11
	s_waitcnt lgkmcnt(0)
	v_add_co_u32 v5, vcc_lo, s2, v5
	v_add_co_ci_u32_e64 v6, null, s3, v6, vcc_lo
	v_lshlrev_b64 v[9:10], 2, v[3:4]
	v_add_nc_u32_e32 v3, v11, v0
	v_add_co_u32 v7, vcc_lo, s2, v7
	v_add_co_ci_u32_e64 v8, null, s3, v8, vcc_lo
	v_lshlrev_b64 v[11:12], 2, v[3:4]
	v_add_nc_u32_e32 v3, v33, v15
	;; [unrolled: 4-line block ×11, first 2 shown]
	v_add_co_u32 v27, vcc_lo, s2, v28
	v_add_co_ci_u32_e64 v28, null, s3, v29, vcc_lo
	v_lshlrev_b64 v[36:37], 2, v[3:4]
	v_add_co_u32 v29, vcc_lo, s2, v30
	v_add_co_ci_u32_e64 v30, null, s3, v31, vcc_lo
	v_add_co_u32 v31, vcc_lo, s2, v36
	v_add_co_ci_u32_e64 v32, null, s3, v37, vcc_lo
	v_mov_b32_e32 v36, v35
	v_mov_b32_e32 v37, v34
.LBB15_2:                               ;   Parent Loop BB15_1 Depth=1
                                        ; =>  This Inner Loop Header: Depth=2
	v_add_nc_u32_e32 v3, v1, v36
	v_mov_b32_e32 v41, v4
	s_clause 0x1
	global_load_dword v54, v[5:6], off
	global_load_dword v55, v[7:8], off
	s_add_u32 s4, s12, s18
	v_mov_b32_e32 v47, v4
	v_lshlrev_b64 v[38:39], 2, v[3:4]
	v_add_nc_u32_e32 v3, 8, v3
	s_addc_u32 s5, s13, s19
	s_add_u32 s6, s4, 0xffffff3c
	v_mov_b32_e32 v49, v4
	s_addc_u32 s7, s5, -1
	v_lshlrev_b64 v[42:43], 2, v[3:4]
	v_add_nc_u32_e32 v3, v1, v37
	v_add_co_u32 v38, vcc_lo, s0, v38
	v_add_co_ci_u32_e64 v39, null, s1, v39, vcc_lo
	v_add_nc_u32_e32 v40, 8, v3
	v_add_co_u32 v42, vcc_lo, s0, v42
	v_lshlrev_b64 v[44:45], 2, v[3:4]
	v_add_co_ci_u32_e64 v43, null, s1, v43, vcc_lo
	v_lshlrev_b64 v[40:41], 2, v[40:41]
	global_load_dword v39, v[38:39], off
	v_add_nc_u32_e32 v46, 40, v3
	global_load_dword v38, v[42:43], off
	v_add_co_u32 v42, vcc_lo, s0, v44
	v_add_co_ci_u32_e64 v43, null, s1, v45, vcc_lo
	v_add_co_u32 v40, vcc_lo, s0, v40
	v_add_co_ci_u32_e64 v41, null, s1, v41, vcc_lo
	s_clause 0x1
	global_load_dword v56, v[42:43], off
	global_load_dword v57, v[40:41], off
	v_mov_b32_e32 v41, v4
	v_add_nc_u32_e32 v40, 16, v3
	v_mov_b32_e32 v43, v4
	v_add_nc_u32_e32 v42, 24, v3
	;; [unrolled: 2-line block ×3, first 2 shown]
	v_lshlrev_b64 v[40:41], 2, v[40:41]
	v_add_nc_u32_e32 v48, 48, v3
	v_lshlrev_b64 v[42:43], 2, v[42:43]
	s_add_u32 s22, s12, s16
	v_lshlrev_b64 v[44:45], 2, v[44:45]
	v_mov_b32_e32 v51, v4
	s_addc_u32 s23, s13, s17
	s_clause 0x5
	s_load_dword s27, s[6:7], 0x0
	s_load_dword s26, s[4:5], 0x0
	s_load_dwordx4 s[4:7], s[22:23], 0x0
	s_load_dwordx2 s[20:21], s[22:23], 0x10
	s_load_dword s25, s[22:23], 0x18
	s_load_dwordx4 s[8:11], s[22:23], 0xc4
	v_add_nc_u32_e32 v50, 56, v3
	v_lshlrev_b64 v[46:47], 2, v[46:47]
	v_add_co_u32 v40, vcc_lo, s0, v40
	v_mov_b32_e32 v53, v4
	v_add_nc_u32_e32 v52, 64, v3
	v_lshlrev_b64 v[48:49], 2, v[48:49]
	v_add_co_ci_u32_e64 v41, null, s1, v41, vcc_lo
	v_add_co_u32 v42, vcc_lo, s0, v42
	v_lshlrev_b64 v[50:51], 2, v[50:51]
	v_add_co_ci_u32_e64 v43, null, s1, v43, vcc_lo
	v_add_co_u32 v44, vcc_lo, s0, v44
	;; [unrolled: 3-line block ×3, first 2 shown]
	v_add_co_ci_u32_e64 v47, null, s1, v47, vcc_lo
	v_add_co_u32 v48, vcc_lo, s0, v48
	v_add_co_ci_u32_e64 v49, null, s1, v49, vcc_lo
	v_add_co_u32 v50, vcc_lo, s0, v50
	;; [unrolled: 2-line block ×3, first 2 shown]
	v_add_co_ci_u32_e64 v53, null, s1, v53, vcc_lo
	s_clause 0x6
	global_load_dword v40, v[40:41], off
	global_load_dword v41, v[42:43], off
	;; [unrolled: 1-line block ×7, first 2 shown]
	s_add_u32 s18, s18, 4
	v_add_nc_u32_e32 v36, 16, v36
	s_addc_u32 s19, s19, 0
	v_add_nc_u32_e32 v37, 0x70, v37
	s_add_u32 s16, s16, 28
	s_addc_u32 s17, s17, 0
	s_cmpk_eq_i32 s16, 0xc4
	s_waitcnt vmcnt(8) lgkmcnt(0)
	v_fma_f32 v46, -s27, v56, v54
	s_waitcnt vmcnt(7)
	v_fmac_f32_e32 v55, s27, v57
	v_fmac_f32_e32 v46, s4, v39
	v_fma_f32 v47, -v39, s8, v55
	v_fmac_f32_e32 v46, s26, v57
	v_fmac_f32_e32 v47, s26, v56
	v_fma_f32 v46, -v38, s8, v46
	v_fma_f32 v47, -v38, s4, v47
	global_store_dword v[5:6], v46, off
	global_store_dword v[7:8], v47, off
	s_clause 0x1
	global_load_dword v46, v[9:10], off
	global_load_dword v47, v[11:12], off
	s_waitcnt vmcnt(1)
	v_fma_f32 v46, -s27, v40, v46
	s_waitcnt vmcnt(0)
	v_fmac_f32_e32 v47, s27, v41
	v_fmac_f32_e32 v46, s5, v39
	v_fma_f32 v47, -v39, s9, v47
	v_fmac_f32_e32 v46, s26, v41
	v_fmac_f32_e32 v47, s26, v40
	v_fma_f32 v40, -v38, s9, v46
	v_fma_f32 v41, -v38, s5, v47
	global_store_dword v[9:10], v40, off
	global_store_dword v[11:12], v41, off
	s_clause 0x1
	global_load_dword v40, v[13:14], off
	global_load_dword v41, v[15:16], off
	s_waitcnt vmcnt(1)
	v_fma_f32 v40, -s27, v42, v40
	s_waitcnt vmcnt(0)
	v_fmac_f32_e32 v41, s27, v43
	v_fmac_f32_e32 v40, s6, v39
	v_fma_f32 v41, -v39, s10, v41
	v_fmac_f32_e32 v40, s26, v43
	v_fmac_f32_e32 v41, s26, v42
	v_fma_f32 v40, -v38, s10, v40
	v_fma_f32 v41, -v38, s6, v41
	global_store_dword v[13:14], v40, off
	global_store_dword v[15:16], v41, off
	s_clause 0x1
	global_load_dword v42, v[17:18], off
	global_load_dword v43, v[19:20], off
	v_mov_b32_e32 v41, v4
	v_add_nc_u32_e32 v40, 0x48, v3
	v_lshlrev_b64 v[40:41], 2, v[40:41]
	v_add_co_u32 v40, vcc_lo, s0, v40
	v_add_co_ci_u32_e64 v41, null, s1, v41, vcc_lo
	global_load_dword v49, v[40:41], off
	s_waitcnt vmcnt(2)
	v_fma_f32 v40, -s27, v44, v42
	s_waitcnt vmcnt(1)
	v_fmac_f32_e32 v43, s27, v45
	v_add_nc_u32_e32 v42, 0x58, v3
	v_fmac_f32_e32 v40, s7, v39
	v_fma_f32 v41, -v39, s11, v43
	v_mov_b32_e32 v43, v4
	v_fmac_f32_e32 v40, s26, v45
	v_fmac_f32_e32 v41, s26, v44
	v_mov_b32_e32 v45, v4
	v_add_nc_u32_e32 v44, 0x60, v3
	v_lshlrev_b64 v[42:43], 2, v[42:43]
	v_fma_f32 v40, -v38, s11, v40
	v_fma_f32 v41, -v38, s7, v41
	global_store_dword v[17:18], v40, off
	global_store_dword v[19:20], v41, off
	s_clause 0x1
	global_load_dword v50, v[21:22], off
	global_load_dword v51, v[23:24], off
	v_mov_b32_e32 v41, v4
	v_add_nc_u32_e32 v40, 0x50, v3
	v_add_nc_u32_e32 v3, 0x68, v3
	s_clause 0x1
	s_load_dword s6, s[22:23], 0xdc
	s_load_dwordx2 s[4:5], s[22:23], 0xd4
	v_lshlrev_b64 v[44:45], 2, v[44:45]
	v_lshlrev_b64 v[40:41], 2, v[40:41]
	v_lshlrev_b64 v[46:47], 2, v[3:4]
	v_add_co_u32 v40, vcc_lo, s0, v40
	v_add_co_ci_u32_e64 v41, null, s1, v41, vcc_lo
	v_add_co_u32 v42, vcc_lo, s0, v42
	v_add_co_ci_u32_e64 v43, null, s1, v43, vcc_lo
	;; [unrolled: 2-line block ×4, first 2 shown]
	s_clause 0x3
	global_load_dword v3, v[40:41], off
	global_load_dword v40, v[42:43], off
	;; [unrolled: 1-line block ×4, first 2 shown]
	s_waitcnt vmcnt(5)
	v_fma_f32 v43, -s27, v48, v50
	s_waitcnt vmcnt(4)
	v_fmac_f32_e32 v51, s27, v49
	v_fmac_f32_e32 v43, s20, v39
	s_waitcnt lgkmcnt(0)
	v_fma_f32 v44, -v39, s4, v51
	v_fmac_f32_e32 v43, s26, v49
	v_fmac_f32_e32 v44, s26, v48
	v_fma_f32 v43, -v38, s4, v43
	v_fma_f32 v44, -v38, s20, v44
	global_store_dword v[21:22], v43, off
	global_store_dword v[23:24], v44, off
	s_clause 0x1
	global_load_dword v43, v[25:26], off
	global_load_dword v44, v[27:28], off
	s_waitcnt vmcnt(1)
	v_fma_f32 v43, -s27, v3, v43
	s_waitcnt vmcnt(0)
	v_fmac_f32_e32 v44, s27, v40
	v_fmac_f32_e32 v43, s21, v39
	v_fma_f32 v44, -v39, s5, v44
	v_fmac_f32_e32 v43, s26, v40
	v_fmac_f32_e32 v44, s26, v3
	v_fma_f32 v3, -v38, s5, v43
	v_fma_f32 v40, -v38, s21, v44
	global_store_dword v[25:26], v3, off
	global_store_dword v[27:28], v40, off
	s_clause 0x1
	global_load_dword v3, v[29:30], off
	global_load_dword v40, v[31:32], off
	s_waitcnt vmcnt(1)
	v_fma_f32 v3, -s27, v41, v3
	s_waitcnt vmcnt(0)
	v_fmac_f32_e32 v40, s27, v42
	v_fmac_f32_e32 v3, s25, v39
	v_fma_f32 v39, -v39, s6, v40
	v_fmac_f32_e32 v3, s26, v42
	v_fmac_f32_e32 v39, s26, v41
	v_fma_f32 v3, -v38, s6, v3
	v_fma_f32 v38, -v38, s25, v39
	global_store_dword v[29:30], v3, off
	global_store_dword v[31:32], v38, off
	s_cbranch_scc0 .LBB15_2
; %bb.3:                                ;   in Loop: Header=BB15_1 Depth=1
	s_add_i32 s24, s24, 1
	v_add_nc_u32_e32 v35, 0x70, v35
	s_add_u32 s14, s14, 28
	s_addc_u32 s15, s15, 0
	s_cmp_eq_u32 s24, 7
	s_cbranch_scc0 .LBB15_1
; %bb.4:
	s_endpgm
	.section	.rodata,"a",@progbits
	.p2align	6, 0x0
	.amdhsa_kernel _Z32comm_aosoa_constants_direct_permPK15HIP_vector_typeIfLj2EEPS0_S2_
		.amdhsa_group_segment_fixed_size 0
		.amdhsa_private_segment_fixed_size 0
		.amdhsa_kernarg_size 24
		.amdhsa_user_sgpr_count 6
		.amdhsa_user_sgpr_private_segment_buffer 1
		.amdhsa_user_sgpr_dispatch_ptr 0
		.amdhsa_user_sgpr_queue_ptr 0
		.amdhsa_user_sgpr_kernarg_segment_ptr 1
		.amdhsa_user_sgpr_dispatch_id 0
		.amdhsa_user_sgpr_flat_scratch_init 0
		.amdhsa_user_sgpr_private_segment_size 0
		.amdhsa_wavefront_size32 1
		.amdhsa_uses_dynamic_stack 0
		.amdhsa_system_sgpr_private_segment_wavefront_offset 0
		.amdhsa_system_sgpr_workgroup_id_x 1
		.amdhsa_system_sgpr_workgroup_id_y 1
		.amdhsa_system_sgpr_workgroup_id_z 0
		.amdhsa_system_sgpr_workgroup_info 0
		.amdhsa_system_vgpr_workitem_id 1
		.amdhsa_next_free_vgpr 58
		.amdhsa_next_free_sgpr 28
		.amdhsa_reserve_vcc 1
		.amdhsa_reserve_flat_scratch 0
		.amdhsa_float_round_mode_32 0
		.amdhsa_float_round_mode_16_64 0
		.amdhsa_float_denorm_mode_32 3
		.amdhsa_float_denorm_mode_16_64 3
		.amdhsa_dx10_clamp 1
		.amdhsa_ieee_mode 1
		.amdhsa_fp16_overflow 0
		.amdhsa_workgroup_processor_mode 1
		.amdhsa_memory_ordered 1
		.amdhsa_forward_progress 1
		.amdhsa_shared_vgpr_count 0
		.amdhsa_exception_fp_ieee_invalid_op 0
		.amdhsa_exception_fp_denorm_src 0
		.amdhsa_exception_fp_ieee_div_zero 0
		.amdhsa_exception_fp_ieee_overflow 0
		.amdhsa_exception_fp_ieee_underflow 0
		.amdhsa_exception_fp_ieee_inexact 0
		.amdhsa_exception_int_div_zero 0
	.end_amdhsa_kernel
	.text
.Lfunc_end15:
	.size	_Z32comm_aosoa_constants_direct_permPK15HIP_vector_typeIfLj2EEPS0_S2_, .Lfunc_end15-_Z32comm_aosoa_constants_direct_permPK15HIP_vector_typeIfLj2EEPS0_S2_
                                        ; -- End function
	.set _Z32comm_aosoa_constants_direct_permPK15HIP_vector_typeIfLj2EEPS0_S2_.num_vgpr, 58
	.set _Z32comm_aosoa_constants_direct_permPK15HIP_vector_typeIfLj2EEPS0_S2_.num_agpr, 0
	.set _Z32comm_aosoa_constants_direct_permPK15HIP_vector_typeIfLj2EEPS0_S2_.numbered_sgpr, 28
	.set _Z32comm_aosoa_constants_direct_permPK15HIP_vector_typeIfLj2EEPS0_S2_.num_named_barrier, 0
	.set _Z32comm_aosoa_constants_direct_permPK15HIP_vector_typeIfLj2EEPS0_S2_.private_seg_size, 0
	.set _Z32comm_aosoa_constants_direct_permPK15HIP_vector_typeIfLj2EEPS0_S2_.uses_vcc, 1
	.set _Z32comm_aosoa_constants_direct_permPK15HIP_vector_typeIfLj2EEPS0_S2_.uses_flat_scratch, 0
	.set _Z32comm_aosoa_constants_direct_permPK15HIP_vector_typeIfLj2EEPS0_S2_.has_dyn_sized_stack, 0
	.set _Z32comm_aosoa_constants_direct_permPK15HIP_vector_typeIfLj2EEPS0_S2_.has_recursion, 0
	.set _Z32comm_aosoa_constants_direct_permPK15HIP_vector_typeIfLj2EEPS0_S2_.has_indirect_call, 0
	.section	.AMDGPU.csdata,"",@progbits
; Kernel info:
; codeLenInByte = 2012
; TotalNumSgprs: 30
; NumVgprs: 58
; ScratchSize: 0
; MemoryBound: 0
; FloatMode: 240
; IeeeMode: 1
; LDSByteSize: 0 bytes/workgroup (compile time only)
; SGPRBlocks: 0
; VGPRBlocks: 7
; NumSGPRsForWavesPerEU: 30
; NumVGPRsForWavesPerEU: 58
; Occupancy: 16
; WaveLimiterHint : 1
; COMPUTE_PGM_RSRC2:SCRATCH_EN: 0
; COMPUTE_PGM_RSRC2:USER_SGPR: 6
; COMPUTE_PGM_RSRC2:TRAP_HANDLER: 0
; COMPUTE_PGM_RSRC2:TGID_X_EN: 1
; COMPUTE_PGM_RSRC2:TGID_Y_EN: 1
; COMPUTE_PGM_RSRC2:TGID_Z_EN: 0
; COMPUTE_PGM_RSRC2:TIDIG_COMP_CNT: 1
	.text
	.protected	_Z17comm_manual_aosoaPK15HIP_vector_typeIfLj2EEPS0_S2_i ; -- Begin function _Z17comm_manual_aosoaPK15HIP_vector_typeIfLj2EEPS0_S2_i
	.globl	_Z17comm_manual_aosoaPK15HIP_vector_typeIfLj2EEPS0_S2_i
	.p2align	8
	.type	_Z17comm_manual_aosoaPK15HIP_vector_typeIfLj2EEPS0_S2_i,@function
_Z17comm_manual_aosoaPK15HIP_vector_typeIfLj2EEPS0_S2_i: ; @_Z17comm_manual_aosoaPK15HIP_vector_typeIfLj2EEPS0_S2_i
; %bb.0:
	s_load_dword s8, s[4:5], 0x18
	s_waitcnt lgkmcnt(0)
	s_cmp_lt_i32 s8, 1
	s_cbranch_scc1 .LBB16_7
; %bb.1:
	s_load_dword s0, s[4:5], 0x2c
	s_mul_i32 s22, s8, s8
	s_mov_b32 s24, 0
	s_mov_b32 s23, s22
	s_waitcnt lgkmcnt(0)
	s_and_b32 s0, s0, 0xffff
	v_mad_u64_u32 v[0:1], null, s6, s0, v[0:1]
	s_clause 0x1
	s_load_dwordx2 s[6:7], s[4:5], 0x10
	s_load_dwordx4 s[0:3], s[4:5], 0x0
	s_mov_b32 s5, 0
	s_mov_b32 s9, s5
	s_lshl_b64 s[10:11], s[8:9], 2
	v_mul_lo_u32 v1, s22, v0
	v_mul_lo_u32 v5, s8, v0
	s_lshl_b32 s9, s8, 1
	v_lshlrev_b32_e32 v4, 1, v1
	s_waitcnt lgkmcnt(0)
	s_mov_b64 s[12:13], s[6:7]
	v_mov_b32_e32 v6, v4
.LBB16_2:                               ; =>This Loop Header: Depth=1
                                        ;     Child Loop BB16_3 Depth 2
                                        ;       Child Loop BB16_4 Depth 3
	v_add_nc_u32_e32 v0, s24, v5
	v_mov_b32_e32 v8, v4
	s_mov_b64 s[14:15], s[6:7]
	s_mov_b32 s25, s22
	s_mov_b32 s26, s5
	v_mul_lo_u32 v7, v0, s8
.LBB16_3:                               ;   Parent Loop BB16_2 Depth=1
                                        ; =>  This Loop Header: Depth=2
                                        ;       Child Loop BB16_4 Depth 3
	v_mov_b32_e32 v9, 0
	v_mov_b32_e32 v0, v6
	;; [unrolled: 1-line block ×10, first 2 shown]
	s_mov_b32 s27, 0
	s_mov_b64 s[16:17], s[12:13]
	s_mov_b64 s[18:19], s[14:15]
	s_mov_b32 s20, s25
.LBB16_4:                               ;   Parent Loop BB16_2 Depth=1
                                        ;     Parent Loop BB16_3 Depth=2
                                        ; =>    This Inner Loop Header: Depth=3
	v_ashrrev_i32_e32 v3, 31, v2
	v_ashrrev_i32_e32 v1, 31, v0
	s_add_i32 s4, s23, s27
	s_lshl_b64 s[28:29], s[4:5], 2
	v_lshlrev_b64 v[17:18], 4, v[2:3]
	v_lshlrev_b64 v[19:20], 4, v[0:1]
	s_add_u32 s28, s6, s28
	s_addc_u32 s29, s7, s29
	s_ashr_i32 s21, s20, 31
	v_add_nc_u32_e32 v2, s9, v2
	v_add_co_u32 v21, vcc_lo, s0, v17
	v_add_co_ci_u32_e64 v22, null, s1, v18, vcc_lo
	v_add_co_u32 v29, vcc_lo, s0, v19
	v_add_co_ci_u32_e64 v30, null, s1, v20, vcc_lo
	s_clause 0x3
	global_load_dwordx4 v[17:20], v[21:22], off
	global_load_dwordx4 v[21:24], v[21:22], off offset:16
	global_load_dwordx4 v[25:28], v[29:30], off
	global_load_dwordx4 v[29:32], v[29:30], off offset:16
	s_load_dword s33, s[16:17], 0x0
	s_lshl_b64 s[30:31], s[20:21], 2
	s_load_dword s4, s[28:29], 0x0
	s_add_u32 s28, s6, s30
	s_addc_u32 s29, s7, s31
	s_load_dword s34, s[18:19], 0x0
	s_load_dword s21, s[28:29], 0x0
	s_add_i32 s27, s27, 1
	s_add_i32 s20, s20, s8
	s_add_u32 s18, s18, s10
	v_add_nc_u32_e32 v0, 2, v0
	s_addc_u32 s19, s19, s11
	s_add_u32 s16, s16, 4
	s_addc_u32 s17, s17, 0
	s_cmp_eq_u32 s8, s27
	s_waitcnt vmcnt(3) lgkmcnt(0)
	v_fma_f32 v1, -v17, s33, v9
	v_fma_f32 v3, -v18, s33, v12
	v_fma_f32 v9, -v19, s33, v13
	v_fma_f32 v12, -v20, s33, v14
	s_waitcnt vmcnt(2)
	v_fmac_f32_e32 v10, s33, v21
	v_fmac_f32_e32 v11, s33, v22
	;; [unrolled: 1-line block ×4, first 2 shown]
	s_waitcnt vmcnt(1)
	v_fmac_f32_e32 v12, s34, v28
	v_fmac_f32_e32 v9, s34, v27
	;; [unrolled: 1-line block ×4, first 2 shown]
	v_fma_f32 v16, -v28, s21, v16
	v_fma_f32 v15, -v27, s21, v15
	;; [unrolled: 1-line block ×4, first 2 shown]
	v_fmac_f32_e32 v1, s4, v21
	v_fmac_f32_e32 v3, s4, v22
	;; [unrolled: 1-line block ×8, first 2 shown]
	s_waitcnt vmcnt(0)
	v_fma_f32 v14, -v32, s21, v12
	v_fma_f32 v13, -v31, s21, v9
	v_fma_f32 v12, -v30, s21, v3
	v_fma_f32 v9, -v29, s21, v1
	v_fma_f32 v16, -s34, v32, v16
	v_fma_f32 v15, -s34, v31, v15
	v_fma_f32 v11, -s34, v30, v11
	v_fma_f32 v10, -s34, v29, v10
	s_cbranch_scc0 .LBB16_4
; %bb.5:                                ;   in Loop: Header=BB16_3 Depth=2
	v_add_lshl_u32 v0, s26, v7, 1
	s_add_i32 s26, s26, 1
	s_add_i32 s25, s25, 1
	v_add_nc_u32_e32 v8, 2, v8
	s_add_u32 s14, s14, 4
	v_ashrrev_i32_e32 v1, 31, v0
	s_addc_u32 s15, s15, 0
	s_cmp_eq_u32 s26, s8
	v_lshlrev_b64 v[0:1], 4, v[0:1]
	v_add_co_u32 v21, vcc_lo, s2, v0
	v_add_co_ci_u32_e64 v22, null, s3, v1, vcc_lo
	s_clause 0x1
	global_load_dwordx4 v[0:3], v[21:22], off
	global_load_dwordx4 v[17:20], v[21:22], off offset:16
	s_waitcnt vmcnt(1)
	v_add_f32_e32 v3, v16, v3
	v_add_f32_e32 v2, v15, v2
	;; [unrolled: 1-line block ×4, first 2 shown]
	s_waitcnt vmcnt(0)
	v_add_f32_e32 v14, v14, v20
	v_add_f32_e32 v13, v13, v19
	;; [unrolled: 1-line block ×4, first 2 shown]
	global_store_dwordx4 v[21:22], v[0:3], off
	global_store_dwordx4 v[21:22], v[11:14], off offset:16
	s_cbranch_scc0 .LBB16_3
; %bb.6:                                ;   in Loop: Header=BB16_2 Depth=1
	s_add_i32 s24, s24, 1
	s_add_i32 s23, s23, s8
	v_add_nc_u32_e32 v6, s9, v6
	s_add_u32 s12, s12, s10
	s_addc_u32 s13, s13, s11
	s_cmp_eq_u32 s24, s8
	s_cbranch_scc0 .LBB16_2
.LBB16_7:
	s_endpgm
	.section	.rodata,"a",@progbits
	.p2align	6, 0x0
	.amdhsa_kernel _Z17comm_manual_aosoaPK15HIP_vector_typeIfLj2EEPS0_S2_i
		.amdhsa_group_segment_fixed_size 0
		.amdhsa_private_segment_fixed_size 0
		.amdhsa_kernarg_size 288
		.amdhsa_user_sgpr_count 6
		.amdhsa_user_sgpr_private_segment_buffer 1
		.amdhsa_user_sgpr_dispatch_ptr 0
		.amdhsa_user_sgpr_queue_ptr 0
		.amdhsa_user_sgpr_kernarg_segment_ptr 1
		.amdhsa_user_sgpr_dispatch_id 0
		.amdhsa_user_sgpr_flat_scratch_init 0
		.amdhsa_user_sgpr_private_segment_size 0
		.amdhsa_wavefront_size32 1
		.amdhsa_uses_dynamic_stack 0
		.amdhsa_system_sgpr_private_segment_wavefront_offset 0
		.amdhsa_system_sgpr_workgroup_id_x 1
		.amdhsa_system_sgpr_workgroup_id_y 0
		.amdhsa_system_sgpr_workgroup_id_z 0
		.amdhsa_system_sgpr_workgroup_info 0
		.amdhsa_system_vgpr_workitem_id 0
		.amdhsa_next_free_vgpr 33
		.amdhsa_next_free_sgpr 35
		.amdhsa_reserve_vcc 1
		.amdhsa_reserve_flat_scratch 0
		.amdhsa_float_round_mode_32 0
		.amdhsa_float_round_mode_16_64 0
		.amdhsa_float_denorm_mode_32 3
		.amdhsa_float_denorm_mode_16_64 3
		.amdhsa_dx10_clamp 1
		.amdhsa_ieee_mode 1
		.amdhsa_fp16_overflow 0
		.amdhsa_workgroup_processor_mode 1
		.amdhsa_memory_ordered 1
		.amdhsa_forward_progress 1
		.amdhsa_shared_vgpr_count 0
		.amdhsa_exception_fp_ieee_invalid_op 0
		.amdhsa_exception_fp_denorm_src 0
		.amdhsa_exception_fp_ieee_div_zero 0
		.amdhsa_exception_fp_ieee_overflow 0
		.amdhsa_exception_fp_ieee_underflow 0
		.amdhsa_exception_fp_ieee_inexact 0
		.amdhsa_exception_int_div_zero 0
	.end_amdhsa_kernel
	.text
.Lfunc_end16:
	.size	_Z17comm_manual_aosoaPK15HIP_vector_typeIfLj2EEPS0_S2_i, .Lfunc_end16-_Z17comm_manual_aosoaPK15HIP_vector_typeIfLj2EEPS0_S2_i
                                        ; -- End function
	.set _Z17comm_manual_aosoaPK15HIP_vector_typeIfLj2EEPS0_S2_i.num_vgpr, 33
	.set _Z17comm_manual_aosoaPK15HIP_vector_typeIfLj2EEPS0_S2_i.num_agpr, 0
	.set _Z17comm_manual_aosoaPK15HIP_vector_typeIfLj2EEPS0_S2_i.numbered_sgpr, 35
	.set _Z17comm_manual_aosoaPK15HIP_vector_typeIfLj2EEPS0_S2_i.num_named_barrier, 0
	.set _Z17comm_manual_aosoaPK15HIP_vector_typeIfLj2EEPS0_S2_i.private_seg_size, 0
	.set _Z17comm_manual_aosoaPK15HIP_vector_typeIfLj2EEPS0_S2_i.uses_vcc, 1
	.set _Z17comm_manual_aosoaPK15HIP_vector_typeIfLj2EEPS0_S2_i.uses_flat_scratch, 0
	.set _Z17comm_manual_aosoaPK15HIP_vector_typeIfLj2EEPS0_S2_i.has_dyn_sized_stack, 0
	.set _Z17comm_manual_aosoaPK15HIP_vector_typeIfLj2EEPS0_S2_i.has_recursion, 0
	.set _Z17comm_manual_aosoaPK15HIP_vector_typeIfLj2EEPS0_S2_i.has_indirect_call, 0
	.section	.AMDGPU.csdata,"",@progbits
; Kernel info:
; codeLenInByte = 788
; TotalNumSgprs: 37
; NumVgprs: 33
; ScratchSize: 0
; MemoryBound: 0
; FloatMode: 240
; IeeeMode: 1
; LDSByteSize: 0 bytes/workgroup (compile time only)
; SGPRBlocks: 0
; VGPRBlocks: 4
; NumSGPRsForWavesPerEU: 37
; NumVGPRsForWavesPerEU: 33
; Occupancy: 16
; WaveLimiterHint : 0
; COMPUTE_PGM_RSRC2:SCRATCH_EN: 0
; COMPUTE_PGM_RSRC2:USER_SGPR: 6
; COMPUTE_PGM_RSRC2:TRAP_HANDLER: 0
; COMPUTE_PGM_RSRC2:TGID_X_EN: 1
; COMPUTE_PGM_RSRC2:TGID_Y_EN: 0
; COMPUTE_PGM_RSRC2:TGID_Z_EN: 0
; COMPUTE_PGM_RSRC2:TIDIG_COMP_CNT: 0
	.text
	.protected	_Z27comm_manual_aosoa_constantsPK15HIP_vector_typeIfLj2EEPS0_S2_ ; -- Begin function _Z27comm_manual_aosoa_constantsPK15HIP_vector_typeIfLj2EEPS0_S2_
	.globl	_Z27comm_manual_aosoa_constantsPK15HIP_vector_typeIfLj2EEPS0_S2_
	.p2align	8
	.type	_Z27comm_manual_aosoa_constantsPK15HIP_vector_typeIfLj2EEPS0_S2_,@function
_Z27comm_manual_aosoa_constantsPK15HIP_vector_typeIfLj2EEPS0_S2_: ; @_Z27comm_manual_aosoa_constantsPK15HIP_vector_typeIfLj2EEPS0_S2_
; %bb.0:
	s_load_dword s0, s[4:5], 0x24
	s_mov_b32 s20, 0
	s_mov_b32 s21, 0
	s_waitcnt lgkmcnt(0)
	s_and_b32 s0, s0, 0xffff
	v_mad_u64_u32 v[0:1], null, s6, s0, v[0:1]
	s_clause 0x1
	s_load_dwordx4 s[0:3], s[4:5], 0x0
	s_load_dwordx2 s[4:5], s[4:5], 0x10
	s_mov_b64 s[6:7], 0
	v_mul_lo_u32 v0, 0x62, v0
	v_ashrrev_i32_e32 v1, 31, v0
	v_lshlrev_b64 v[1:2], 4, v[0:1]
	s_waitcnt lgkmcnt(0)
	v_add_co_u32 v1, vcc_lo, s0, v1
	v_add_co_ci_u32_e64 v2, null, s1, v2, vcc_lo
	s_branch .LBB17_2
.LBB17_1:                               ;   in Loop: Header=BB17_2 Depth=1
	s_add_i32 s21, s21, 1
	s_add_u32 s6, s6, 28
	s_addc_u32 s7, s7, 0
	s_add_i32 s20, s20, 14
	s_cmp_eq_u32 s21, 7
	s_cbranch_scc1 .LBB17_8
.LBB17_2:                               ; =>This Loop Header: Depth=1
                                        ;     Child Loop BB17_4 Depth 2
                                        ;       Child Loop BB17_6 Depth 3
	v_mov_b32_e32 v4, v2
	v_mov_b32_e32 v3, v1
	s_mul_i32 s22, s21, 7
	s_mov_b32 s23, 14
	s_mov_b64 s[8:9], 0
	s_mov_b32 s24, 0
	s_branch .LBB17_4
.LBB17_3:                               ;   in Loop: Header=BB17_4 Depth=2
	s_add_i32 s10, s24, s22
	s_add_i32 s24, s24, 1
	v_lshl_add_u32 v14, s10, 1, v0
	s_add_u32 s8, s8, 4
	s_addc_u32 s9, s9, 0
	s_add_i32 s23, s23, 2
	s_cmp_eq_u32 s24, 7
	v_ashrrev_i32_e32 v15, 31, v14
	v_lshlrev_b64 v[14:15], 4, v[14:15]
	v_add_co_u32 v22, vcc_lo, s2, v14
	v_add_co_ci_u32_e64 v23, null, s3, v15, vcc_lo
	v_add_co_u32 v3, vcc_lo, v3, 32
	v_add_co_ci_u32_e64 v4, null, 0, v4, vcc_lo
	s_clause 0x1
	global_load_dwordx4 v[14:17], v[22:23], off
	global_load_dwordx4 v[18:21], v[22:23], off offset:16
	s_waitcnt vmcnt(1)
	v_add_f32_e32 v13, v13, v17
	v_add_f32_e32 v12, v12, v16
	;; [unrolled: 1-line block ×4, first 2 shown]
	s_waitcnt vmcnt(0)
	v_add_f32_e32 v9, v9, v21
	v_add_f32_e32 v8, v8, v20
	;; [unrolled: 1-line block ×4, first 2 shown]
	global_store_dwordx4 v[22:23], v[10:13], off
	global_store_dwordx4 v[22:23], v[6:9], off offset:16
	s_cbranch_scc1 .LBB17_1
.LBB17_4:                               ;   Parent Loop BB17_2 Depth=1
                                        ; =>  This Loop Header: Depth=2
                                        ;       Child Loop BB17_6 Depth 3
	v_mov_b32_e32 v18, 0
	v_mov_b32_e32 v19, 0
	;; [unrolled: 1-line block ×8, first 2 shown]
	s_mov_b64 s[10:11], 0
	s_mov_b32 s25, s23
	s_mov_b64 s[12:13], s[8:9]
	s_mov_b32 s26, s20
	s_mov_b64 s[14:15], s[6:7]
	s_branch .LBB17_6
.LBB17_5:                               ;   in Loop: Header=BB17_6 Depth=3
	s_andn2_b32 vcc_lo, exec_lo, s27
	s_cbranch_vccz .LBB17_3
.LBB17_6:                               ;   Parent Loop BB17_2 Depth=1
                                        ;     Parent Loop BB17_4 Depth=2
                                        ; =>    This Inner Loop Header: Depth=3
	v_add_nc_u32_e32 v5, s26, v0
	v_add_co_u32 v10, vcc_lo, v3, s10
	v_add_co_ci_u32_e64 v11, null, s11, v4, vcc_lo
	v_ashrrev_i32_e32 v6, 31, v5
	s_add_u32 s16, s4, s14
	s_addc_u32 s17, s5, s15
	s_add_u32 s18, s4, s12
	s_addc_u32 s19, s5, s13
	v_lshlrev_b64 v[12:13], 4, v[5:6]
	global_load_dwordx4 v[6:9], v[10:11], off
	s_cmpk_eq_i32 s10, 0x540
	v_add_co_u32 v26, vcc_lo, s0, v12
	v_add_co_ci_u32_e64 v27, null, s1, v13, vcc_lo
	global_load_dwordx4 v[10:13], v[10:11], off offset:16
	s_clause 0x1
	global_load_dwordx4 v[22:25], v[26:27], off
	global_load_dwordx4 v[26:29], v[26:27], off offset:16
	s_clause 0x3
	s_load_dword s27, s[16:17], 0x0
	s_load_dword s28, s[18:19], 0x0
	s_load_dword s29, s[18:19], 0xc4
	s_load_dword s30, s[16:17], 0xc4
	s_waitcnt vmcnt(3) lgkmcnt(0)
	v_fma_f32 v18, -v6, s27, v18
	v_fma_f32 v19, -v7, s27, v19
	;; [unrolled: 1-line block ×4, first 2 shown]
	s_waitcnt vmcnt(2)
	v_fmac_f32_e32 v14, s27, v10
	v_fmac_f32_e32 v15, s27, v11
	v_fmac_f32_e32 v16, s27, v12
	v_fmac_f32_e32 v17, s27, v13
	s_waitcnt vmcnt(1)
	v_fmac_f32_e32 v21, s28, v25
	v_fmac_f32_e32 v20, s28, v24
	;; [unrolled: 1-line block ×4, first 2 shown]
	v_fma_f32 v17, -v25, s29, v17
	v_fma_f32 v16, -v24, s29, v16
	;; [unrolled: 1-line block ×4, first 2 shown]
	v_fmac_f32_e32 v18, s30, v10
	v_fmac_f32_e32 v19, s30, v11
	;; [unrolled: 1-line block ×8, first 2 shown]
	s_waitcnt vmcnt(0)
	v_fma_f32 v9, -v29, s29, v21
	v_fma_f32 v8, -v28, s29, v20
	;; [unrolled: 1-line block ×8, first 2 shown]
	s_mov_b32 s27, -1
                                        ; implicit-def: $vgpr17
                                        ; implicit-def: $vgpr16
                                        ; implicit-def: $vgpr15
                                        ; implicit-def: $vgpr14
                                        ; implicit-def: $vgpr21
                                        ; implicit-def: $vgpr20
                                        ; implicit-def: $vgpr19
                                        ; implicit-def: $vgpr18
	s_cbranch_scc1 .LBB17_5
; %bb.7:                                ;   in Loop: Header=BB17_6 Depth=3
	v_add_nc_u32_e32 v14, s25, v0
	v_add_nc_u32_e32 v16, 2, v5
	v_mov_b32_e32 v5, v10
	s_add_u32 s14, s14, 8
	s_addc_u32 s15, s15, 0
	v_ashrrev_i32_e32 v15, 31, v14
	v_ashrrev_i32_e32 v17, 31, v16
	s_add_u32 s10, s10, 0x1c0
	s_addc_u32 s11, s11, 0
	s_add_i32 s26, s26, 4
	v_lshlrev_b64 v[14:15], 4, v[14:15]
	v_lshlrev_b64 v[20:21], 4, v[16:17]
	s_add_u32 s12, s12, 56
	s_addc_u32 s13, s13, 0
	s_add_i32 s25, s25, 28
	v_add_co_u32 v18, vcc_lo, s0, v14
	v_add_co_ci_u32_e64 v19, null, s1, v15, vcc_lo
	v_add_co_u32 v26, vcc_lo, s0, v20
	v_add_co_ci_u32_e64 v27, null, s1, v21, vcc_lo
	s_clause 0x3
	global_load_dwordx4 v[14:17], v[18:19], off
	global_load_dwordx4 v[18:21], v[18:19], off offset:16
	global_load_dwordx4 v[22:25], v[26:27], off
	global_load_dwordx4 v[26:29], v[26:27], off offset:16
	s_clause 0x3
	s_load_dword s27, s[16:17], 0x4
	s_load_dword s28, s[18:19], 0x1c
	;; [unrolled: 1-line block ×4, first 2 shown]
	s_waitcnt vmcnt(2) lgkmcnt(0)
	v_fma_f32 v34, s27, v21, v13
	v_fma_f32 v30, -v17, s27, v9
	v_fma_f32 v31, -v16, s27, v8
	v_fma_f32 v32, -v15, s27, v7
	v_fma_f32 v33, -v14, s27, v6
	v_fma_f32 v35, s27, v20, v12
	v_fma_f32 v36, s27, v19, v11
	v_fmac_f32_e32 v5, s27, v18
	s_waitcnt vmcnt(1)
	v_fmac_f32_e32 v32, s28, v23
	v_fmac_f32_e32 v33, s28, v22
	;; [unrolled: 1-line block ×4, first 2 shown]
	v_fma_f32 v5, -v22, s18, v5
	v_fma_f32 v22, -v23, s18, v36
	v_fma_f32 v23, -v24, s18, v35
	v_fma_f32 v24, -v25, s18, v34
	v_fmac_f32_e32 v30, s16, v21
	v_fmac_f32_e32 v31, s16, v20
	;; [unrolled: 1-line block ×8, first 2 shown]
	s_waitcnt vmcnt(0)
	v_fma_f32 v18, -v26, s18, v33
	v_fma_f32 v19, -v27, s18, v32
	;; [unrolled: 1-line block ×8, first 2 shown]
	s_mov_b32 s27, 0
	s_branch .LBB17_5
.LBB17_8:
	s_endpgm
	.section	.rodata,"a",@progbits
	.p2align	6, 0x0
	.amdhsa_kernel _Z27comm_manual_aosoa_constantsPK15HIP_vector_typeIfLj2EEPS0_S2_
		.amdhsa_group_segment_fixed_size 0
		.amdhsa_private_segment_fixed_size 0
		.amdhsa_kernarg_size 280
		.amdhsa_user_sgpr_count 6
		.amdhsa_user_sgpr_private_segment_buffer 1
		.amdhsa_user_sgpr_dispatch_ptr 0
		.amdhsa_user_sgpr_queue_ptr 0
		.amdhsa_user_sgpr_kernarg_segment_ptr 1
		.amdhsa_user_sgpr_dispatch_id 0
		.amdhsa_user_sgpr_flat_scratch_init 0
		.amdhsa_user_sgpr_private_segment_size 0
		.amdhsa_wavefront_size32 1
		.amdhsa_uses_dynamic_stack 0
		.amdhsa_system_sgpr_private_segment_wavefront_offset 0
		.amdhsa_system_sgpr_workgroup_id_x 1
		.amdhsa_system_sgpr_workgroup_id_y 0
		.amdhsa_system_sgpr_workgroup_id_z 0
		.amdhsa_system_sgpr_workgroup_info 0
		.amdhsa_system_vgpr_workitem_id 0
		.amdhsa_next_free_vgpr 37
		.amdhsa_next_free_sgpr 31
		.amdhsa_reserve_vcc 1
		.amdhsa_reserve_flat_scratch 0
		.amdhsa_float_round_mode_32 0
		.amdhsa_float_round_mode_16_64 0
		.amdhsa_float_denorm_mode_32 3
		.amdhsa_float_denorm_mode_16_64 3
		.amdhsa_dx10_clamp 1
		.amdhsa_ieee_mode 1
		.amdhsa_fp16_overflow 0
		.amdhsa_workgroup_processor_mode 1
		.amdhsa_memory_ordered 1
		.amdhsa_forward_progress 1
		.amdhsa_shared_vgpr_count 0
		.amdhsa_exception_fp_ieee_invalid_op 0
		.amdhsa_exception_fp_denorm_src 0
		.amdhsa_exception_fp_ieee_div_zero 0
		.amdhsa_exception_fp_ieee_overflow 0
		.amdhsa_exception_fp_ieee_underflow 0
		.amdhsa_exception_fp_ieee_inexact 0
		.amdhsa_exception_int_div_zero 0
	.end_amdhsa_kernel
	.text
.Lfunc_end17:
	.size	_Z27comm_manual_aosoa_constantsPK15HIP_vector_typeIfLj2EEPS0_S2_, .Lfunc_end17-_Z27comm_manual_aosoa_constantsPK15HIP_vector_typeIfLj2EEPS0_S2_
                                        ; -- End function
	.set _Z27comm_manual_aosoa_constantsPK15HIP_vector_typeIfLj2EEPS0_S2_.num_vgpr, 37
	.set _Z27comm_manual_aosoa_constantsPK15HIP_vector_typeIfLj2EEPS0_S2_.num_agpr, 0
	.set _Z27comm_manual_aosoa_constantsPK15HIP_vector_typeIfLj2EEPS0_S2_.numbered_sgpr, 31
	.set _Z27comm_manual_aosoa_constantsPK15HIP_vector_typeIfLj2EEPS0_S2_.num_named_barrier, 0
	.set _Z27comm_manual_aosoa_constantsPK15HIP_vector_typeIfLj2EEPS0_S2_.private_seg_size, 0
	.set _Z27comm_manual_aosoa_constantsPK15HIP_vector_typeIfLj2EEPS0_S2_.uses_vcc, 1
	.set _Z27comm_manual_aosoa_constantsPK15HIP_vector_typeIfLj2EEPS0_S2_.uses_flat_scratch, 0
	.set _Z27comm_manual_aosoa_constantsPK15HIP_vector_typeIfLj2EEPS0_S2_.has_dyn_sized_stack, 0
	.set _Z27comm_manual_aosoa_constantsPK15HIP_vector_typeIfLj2EEPS0_S2_.has_recursion, 0
	.set _Z27comm_manual_aosoa_constantsPK15HIP_vector_typeIfLj2EEPS0_S2_.has_indirect_call, 0
	.section	.AMDGPU.csdata,"",@progbits
; Kernel info:
; codeLenInByte = 1140
; TotalNumSgprs: 33
; NumVgprs: 37
; ScratchSize: 0
; MemoryBound: 0
; FloatMode: 240
; IeeeMode: 1
; LDSByteSize: 0 bytes/workgroup (compile time only)
; SGPRBlocks: 0
; VGPRBlocks: 4
; NumSGPRsForWavesPerEU: 33
; NumVGPRsForWavesPerEU: 37
; Occupancy: 16
; WaveLimiterHint : 0
; COMPUTE_PGM_RSRC2:SCRATCH_EN: 0
; COMPUTE_PGM_RSRC2:USER_SGPR: 6
; COMPUTE_PGM_RSRC2:TRAP_HANDLER: 0
; COMPUTE_PGM_RSRC2:TGID_X_EN: 1
; COMPUTE_PGM_RSRC2:TGID_Y_EN: 0
; COMPUTE_PGM_RSRC2:TGID_Z_EN: 0
; COMPUTE_PGM_RSRC2:TIDIG_COMP_CNT: 0
	.text
	.protected	_Z32comm_manual_aosoa_constants_permPK15HIP_vector_typeIfLj2EEPS0_S2_ ; -- Begin function _Z32comm_manual_aosoa_constants_permPK15HIP_vector_typeIfLj2EEPS0_S2_
	.globl	_Z32comm_manual_aosoa_constants_permPK15HIP_vector_typeIfLj2EEPS0_S2_
	.p2align	8
	.type	_Z32comm_manual_aosoa_constants_permPK15HIP_vector_typeIfLj2EEPS0_S2_,@function
_Z32comm_manual_aosoa_constants_permPK15HIP_vector_typeIfLj2EEPS0_S2_: ; @_Z32comm_manual_aosoa_constants_permPK15HIP_vector_typeIfLj2EEPS0_S2_
; %bb.0:
	s_load_dword s0, s[4:5], 0x24
	s_mov_b32 s7, 0
	s_mov_b32 s16, 0
	s_waitcnt lgkmcnt(0)
	s_and_b32 s0, s0, 0xffff
	v_mad_u64_u32 v[0:1], null, s6, s0, v[0:1]
	s_clause 0x1
	s_load_dwordx4 s[0:3], s[4:5], 0x0
	s_load_dwordx2 s[4:5], s[4:5], 0x10
	v_mul_lo_u32 v8, 0x62, v0
	v_ashrrev_i32_e32 v9, 31, v8
	v_add_nc_u32_e32 v25, 2, v8
	v_lshlrev_b64 v[0:1], 4, v[8:9]
	v_mov_b32_e32 v9, v8
	v_mov_b32_e32 v26, v25
	s_waitcnt lgkmcnt(0)
	s_add_u32 s14, s2, 16
	s_addc_u32 s15, s3, 0
	v_add_co_u32 v0, vcc_lo, s0, v0
	v_add_co_ci_u32_e64 v1, null, s1, v1, vcc_lo
	v_add_co_u32 v11, vcc_lo, v0, 16
	v_add_co_ci_u32_e64 v12, null, 0, v1, vcc_lo
	s_branch .LBB18_2
.LBB18_1:                               ;   in Loop: Header=BB18_2 Depth=1
	v_add_nc_u32_e32 v26, 14, v26
	v_add_nc_u32_e32 v9, 14, v9
	s_add_i32 s16, s16, 1
	s_cmp_eq_u32 s16, 7
	s_cbranch_scc1 .LBB18_8
.LBB18_2:                               ; =>This Loop Header: Depth=1
                                        ;     Child Loop BB18_4 Depth 2
                                        ;       Child Loop BB18_6 Depth 3
	v_ashrrev_i32_e32 v10, 31, v9
	v_mov_b32_e32 v14, v12
	v_mov_b32_e32 v13, v11
	s_mul_i32 s17, s16, 7
	s_mov_b64 s[8:9], s[4:5]
	v_lshlrev_b64 v[0:1], 4, v[9:10]
	v_mov_b32_e32 v10, v25
	s_mov_b32 s18, s7
	v_add_co_u32 v15, vcc_lo, s14, v0
	v_add_co_ci_u32_e64 v16, null, s15, v1, vcc_lo
	s_branch .LBB18_4
.LBB18_3:                               ;   in Loop: Header=BB18_4 Depth=2
	v_add_co_u32 v13, vcc_lo, 0xe0, v13
	s_add_i32 s18, s18, 1
	v_add_nc_u32_e32 v10, 14, v10
	v_add_co_ci_u32_e64 v14, null, 0, v14, vcc_lo
	s_add_u32 s8, s8, 28
	s_addc_u32 s9, s9, 0
	s_cmp_eq_u32 s18, 7
	s_cbranch_scc1 .LBB18_1
.LBB18_4:                               ;   Parent Loop BB18_2 Depth=1
                                        ; =>  This Loop Header: Depth=2
                                        ;       Child Loop BB18_6 Depth 3
	s_add_i32 s6, s18, s17
	v_mov_b32_e32 v18, v14
	v_lshl_add_u32 v0, s6, 1, v8
	s_lshl_b64 s[10:11], s[6:7], 2
	v_mov_b32_e32 v20, v16
	s_add_u32 s10, s4, s10
	s_addc_u32 s11, s5, s11
	v_ashrrev_i32_e32 v1, 31, v0
	v_mov_b32_e32 v17, v13
	v_mov_b32_e32 v19, v15
	v_mov_b32_e32 v21, v10
	v_mov_b32_e32 v23, v26
	v_lshlrev_b64 v[0:1], 4, v[0:1]
	v_add_co_u32 v4, vcc_lo, s0, v0
	v_add_co_ci_u32_e64 v5, null, s1, v1, vcc_lo
	s_clause 0x1
	global_load_dwordx4 v[0:3], v[4:5], off offset:16
	global_load_dwordx4 v[4:7], v[4:5], off
	s_clause 0x1
	s_load_dword s6, s[10:11], 0x0
	s_load_dword s19, s[10:11], 0xc4
	s_mov_b64 s[10:11], 0
	s_waitcnt lgkmcnt(0)
	s_mov_b32 s20, s6
	s_mov_b32 s21, s6
	;; [unrolled: 1-line block ×6, first 2 shown]
	s_branch .LBB18_6
.LBB18_5:                               ;   in Loop: Header=BB18_6 Depth=3
	s_andn2_b32 vcc_lo, exec_lo, s26
	s_cbranch_vccz .LBB18_3
.LBB18_6:                               ;   Parent Loop BB18_2 Depth=1
                                        ;     Parent Loop BB18_4 Depth=2
                                        ; =>    This Inner Loop Header: Depth=3
	global_load_dwordx4 v[27:30], v[17:18], off offset:-16
	s_clause 0x1
	global_load_dwordx4 v[31:34], v[19:20], off
	global_load_dwordx4 v[35:38], v[19:20], off offset:-16
	global_load_dwordx4 v[39:42], v[17:18], off
	s_add_u32 s12, s8, s10
	s_addc_u32 s13, s9, s11
	s_clause 0x1
	s_load_dword s26, s[12:13], 0x0
	s_load_dword s27, s[12:13], 0xc4
	s_cmp_eq_u32 s10, 24
	s_waitcnt vmcnt(2)
	v_fma_f32 v22, -s6, v27, v31
	v_fma_f32 v24, -s20, v28, v32
	;; [unrolled: 1-line block ×4, first 2 shown]
	s_waitcnt vmcnt(0)
	v_fma_f32 v33, s6, v39, v35
	v_fma_f32 v34, s20, v40, v36
	;; [unrolled: 1-line block ×3, first 2 shown]
	v_fmac_f32_e32 v38, s22, v42
	s_waitcnt lgkmcnt(0)
	v_fmac_f32_e32 v32, s26, v7
	v_fmac_f32_e32 v31, s26, v6
	v_fma_f32 v37, -v5, s27, v34
	v_fma_f32 v35, -v6, s27, v35
	;; [unrolled: 1-line block ×4, first 2 shown]
	v_fmac_f32_e32 v24, s26, v5
	v_fmac_f32_e32 v22, s26, v4
	;; [unrolled: 1-line block ×10, first 2 shown]
	v_fma_f32 v30, -v3, s27, v32
	v_fma_f32 v29, -v2, s27, v31
	;; [unrolled: 1-line block ×8, first 2 shown]
	s_mov_b32 s26, -1
	global_store_dwordx4 v[19:20], v[31:34], off offset:-16
	global_store_dwordx4 v[19:20], v[27:30], off
	s_cbranch_scc1 .LBB18_5
; %bb.7:                                ;   in Loop: Header=BB18_6 Depth=3
	v_ashrrev_i32_e32 v22, 31, v21
	v_ashrrev_i32_e32 v24, 31, v23
	s_add_u32 s10, s10, 8
	s_addc_u32 s11, s11, 0
	v_lshlrev_b64 v[27:28], 4, v[21:22]
	v_lshlrev_b64 v[29:30], 4, v[23:24]
	v_add_nc_u32_e32 v23, 4, v23
	v_add_nc_u32_e32 v21, 4, v21
	v_add_co_u32 v39, vcc_lo, s0, v27
	v_add_co_ci_u32_e64 v40, null, s1, v28, vcc_lo
	v_add_co_u32 v43, vcc_lo, s2, v29
	v_add_co_ci_u32_e64 v44, null, s3, v30, vcc_lo
	global_load_dwordx4 v[27:30], v[39:40], off
	s_clause 0x1
	global_load_dwordx4 v[31:34], v[43:44], off offset:16
	global_load_dwordx4 v[35:38], v[43:44], off
	global_load_dwordx4 v[39:42], v[39:40], off offset:16
	s_clause 0x1
	s_load_dword s26, s[12:13], 0x4
	s_load_dword s12, s[12:13], 0xc8
	v_add_co_u32 v19, vcc_lo, v19, 64
	v_add_co_ci_u32_e64 v20, null, 0, v20, vcc_lo
	v_add_co_u32 v17, vcc_lo, v17, 64
	v_add_co_ci_u32_e64 v18, null, 0, v18, vcc_lo
	s_waitcnt vmcnt(2)
	v_fma_f32 v22, -s6, v27, v31
	v_fma_f32 v24, -s20, v28, v32
	;; [unrolled: 1-line block ×4, first 2 shown]
	s_waitcnt vmcnt(0)
	v_fma_f32 v33, s6, v39, v35
	v_fma_f32 v34, s20, v40, v36
	;; [unrolled: 1-line block ×3, first 2 shown]
	v_fmac_f32_e32 v38, s22, v42
	s_waitcnt lgkmcnt(0)
	v_fmac_f32_e32 v32, s26, v7
	v_fmac_f32_e32 v31, s26, v6
	v_fma_f32 v37, -v5, s12, v34
	v_fma_f32 v35, -v6, s12, v35
	;; [unrolled: 1-line block ×4, first 2 shown]
	v_fmac_f32_e32 v24, s26, v5
	v_fmac_f32_e32 v22, s26, v4
	;; [unrolled: 1-line block ×10, first 2 shown]
	v_fma_f32 v30, -v3, s12, v32
	v_fma_f32 v29, -v2, s12, v31
	;; [unrolled: 1-line block ×8, first 2 shown]
	s_mov_b32 s26, 0
	global_store_dwordx4 v[43:44], v[31:34], off
	global_store_dwordx4 v[43:44], v[27:30], off offset:16
	s_branch .LBB18_5
.LBB18_8:
	s_endpgm
	.section	.rodata,"a",@progbits
	.p2align	6, 0x0
	.amdhsa_kernel _Z32comm_manual_aosoa_constants_permPK15HIP_vector_typeIfLj2EEPS0_S2_
		.amdhsa_group_segment_fixed_size 0
		.amdhsa_private_segment_fixed_size 0
		.amdhsa_kernarg_size 280
		.amdhsa_user_sgpr_count 6
		.amdhsa_user_sgpr_private_segment_buffer 1
		.amdhsa_user_sgpr_dispatch_ptr 0
		.amdhsa_user_sgpr_queue_ptr 0
		.amdhsa_user_sgpr_kernarg_segment_ptr 1
		.amdhsa_user_sgpr_dispatch_id 0
		.amdhsa_user_sgpr_flat_scratch_init 0
		.amdhsa_user_sgpr_private_segment_size 0
		.amdhsa_wavefront_size32 1
		.amdhsa_uses_dynamic_stack 0
		.amdhsa_system_sgpr_private_segment_wavefront_offset 0
		.amdhsa_system_sgpr_workgroup_id_x 1
		.amdhsa_system_sgpr_workgroup_id_y 0
		.amdhsa_system_sgpr_workgroup_id_z 0
		.amdhsa_system_sgpr_workgroup_info 0
		.amdhsa_system_vgpr_workitem_id 0
		.amdhsa_next_free_vgpr 45
		.amdhsa_next_free_sgpr 28
		.amdhsa_reserve_vcc 1
		.amdhsa_reserve_flat_scratch 0
		.amdhsa_float_round_mode_32 0
		.amdhsa_float_round_mode_16_64 0
		.amdhsa_float_denorm_mode_32 3
		.amdhsa_float_denorm_mode_16_64 3
		.amdhsa_dx10_clamp 1
		.amdhsa_ieee_mode 1
		.amdhsa_fp16_overflow 0
		.amdhsa_workgroup_processor_mode 1
		.amdhsa_memory_ordered 1
		.amdhsa_forward_progress 1
		.amdhsa_shared_vgpr_count 0
		.amdhsa_exception_fp_ieee_invalid_op 0
		.amdhsa_exception_fp_denorm_src 0
		.amdhsa_exception_fp_ieee_div_zero 0
		.amdhsa_exception_fp_ieee_overflow 0
		.amdhsa_exception_fp_ieee_underflow 0
		.amdhsa_exception_fp_ieee_inexact 0
		.amdhsa_exception_int_div_zero 0
	.end_amdhsa_kernel
	.text
.Lfunc_end18:
	.size	_Z32comm_manual_aosoa_constants_permPK15HIP_vector_typeIfLj2EEPS0_S2_, .Lfunc_end18-_Z32comm_manual_aosoa_constants_permPK15HIP_vector_typeIfLj2EEPS0_S2_
                                        ; -- End function
	.set _Z32comm_manual_aosoa_constants_permPK15HIP_vector_typeIfLj2EEPS0_S2_.num_vgpr, 45
	.set _Z32comm_manual_aosoa_constants_permPK15HIP_vector_typeIfLj2EEPS0_S2_.num_agpr, 0
	.set _Z32comm_manual_aosoa_constants_permPK15HIP_vector_typeIfLj2EEPS0_S2_.numbered_sgpr, 28
	.set _Z32comm_manual_aosoa_constants_permPK15HIP_vector_typeIfLj2EEPS0_S2_.num_named_barrier, 0
	.set _Z32comm_manual_aosoa_constants_permPK15HIP_vector_typeIfLj2EEPS0_S2_.private_seg_size, 0
	.set _Z32comm_manual_aosoa_constants_permPK15HIP_vector_typeIfLj2EEPS0_S2_.uses_vcc, 1
	.set _Z32comm_manual_aosoa_constants_permPK15HIP_vector_typeIfLj2EEPS0_S2_.uses_flat_scratch, 0
	.set _Z32comm_manual_aosoa_constants_permPK15HIP_vector_typeIfLj2EEPS0_S2_.has_dyn_sized_stack, 0
	.set _Z32comm_manual_aosoa_constants_permPK15HIP_vector_typeIfLj2EEPS0_S2_.has_recursion, 0
	.set _Z32comm_manual_aosoa_constants_permPK15HIP_vector_typeIfLj2EEPS0_S2_.has_indirect_call, 0
	.section	.AMDGPU.csdata,"",@progbits
; Kernel info:
; codeLenInByte = 1132
; TotalNumSgprs: 30
; NumVgprs: 45
; ScratchSize: 0
; MemoryBound: 0
; FloatMode: 240
; IeeeMode: 1
; LDSByteSize: 0 bytes/workgroup (compile time only)
; SGPRBlocks: 0
; VGPRBlocks: 5
; NumSGPRsForWavesPerEU: 30
; NumVGPRsForWavesPerEU: 45
; Occupancy: 16
; WaveLimiterHint : 1
; COMPUTE_PGM_RSRC2:SCRATCH_EN: 0
; COMPUTE_PGM_RSRC2:USER_SGPR: 6
; COMPUTE_PGM_RSRC2:TRAP_HANDLER: 0
; COMPUTE_PGM_RSRC2:TGID_X_EN: 1
; COMPUTE_PGM_RSRC2:TGID_Y_EN: 0
; COMPUTE_PGM_RSRC2:TGID_Z_EN: 0
; COMPUTE_PGM_RSRC2:TIDIG_COMP_CNT: 0
	.text
	.protected	_Z41comm_manual_aosoa_constants_perm_prefetchPK15HIP_vector_typeIfLj2EEPS0_S2_ ; -- Begin function _Z41comm_manual_aosoa_constants_perm_prefetchPK15HIP_vector_typeIfLj2EEPS0_S2_
	.globl	_Z41comm_manual_aosoa_constants_perm_prefetchPK15HIP_vector_typeIfLj2EEPS0_S2_
	.p2align	8
	.type	_Z41comm_manual_aosoa_constants_perm_prefetchPK15HIP_vector_typeIfLj2EEPS0_S2_,@function
_Z41comm_manual_aosoa_constants_perm_prefetchPK15HIP_vector_typeIfLj2EEPS0_S2_: ; @_Z41comm_manual_aosoa_constants_perm_prefetchPK15HIP_vector_typeIfLj2EEPS0_S2_
; %bb.0:
	s_load_dword s0, s[4:5], 0x24
	s_mov_b32 s20, 0
	s_mov_b32 s21, 0
	s_waitcnt lgkmcnt(0)
	s_and_b32 s0, s0, 0xffff
	v_mad_u64_u32 v[0:1], null, s6, s0, v[0:1]
	s_clause 0x1
	s_load_dwordx4 s[0:3], s[4:5], 0x0
	s_load_dwordx2 s[4:5], s[4:5], 0x10
	s_mov_b64 s[6:7], 0
	v_mul_lo_u32 v0, 0x62, v0
	v_ashrrev_i32_e32 v1, 31, v0
	v_lshlrev_b64 v[1:2], 4, v[0:1]
	s_waitcnt lgkmcnt(0)
	v_add_co_u32 v1, vcc_lo, s0, v1
	v_add_co_ci_u32_e64 v2, null, s1, v2, vcc_lo
	s_branch .LBB19_2
.LBB19_1:                               ;   in Loop: Header=BB19_2 Depth=1
	s_add_i32 s21, s21, 1
	s_add_u32 s6, s6, 28
	s_addc_u32 s7, s7, 0
	s_add_i32 s20, s20, 14
	s_cmp_eq_u32 s21, 7
	s_cbranch_scc1 .LBB19_8
.LBB19_2:                               ; =>This Loop Header: Depth=1
                                        ;     Child Loop BB19_4 Depth 2
                                        ;       Child Loop BB19_6 Depth 3
	v_mov_b32_e32 v4, v2
	v_mov_b32_e32 v3, v1
	s_mul_i32 s22, s21, 7
	s_mov_b32 s23, 14
	s_mov_b64 s[8:9], 0
	s_mov_b32 s24, 0
	s_branch .LBB19_4
.LBB19_3:                               ;   in Loop: Header=BB19_4 Depth=2
	s_add_i32 s10, s24, s22
	s_add_i32 s24, s24, 1
	v_lshl_add_u32 v14, s10, 1, v0
	s_add_u32 s8, s8, 4
	s_addc_u32 s9, s9, 0
	s_add_i32 s23, s23, 2
	s_cmp_eq_u32 s24, 7
	v_ashrrev_i32_e32 v15, 31, v14
	v_lshlrev_b64 v[14:15], 4, v[14:15]
	v_add_co_u32 v22, vcc_lo, s2, v14
	v_add_co_ci_u32_e64 v23, null, s3, v15, vcc_lo
	v_add_co_u32 v3, vcc_lo, v3, 32
	v_add_co_ci_u32_e64 v4, null, 0, v4, vcc_lo
	s_clause 0x1
	global_load_dwordx4 v[14:17], v[22:23], off
	global_load_dwordx4 v[18:21], v[22:23], off offset:16
	s_waitcnt vmcnt(1)
	v_add_f32_e32 v13, v13, v17
	v_add_f32_e32 v12, v12, v16
	;; [unrolled: 1-line block ×4, first 2 shown]
	s_waitcnt vmcnt(0)
	v_add_f32_e32 v9, v9, v21
	v_add_f32_e32 v8, v8, v20
	;; [unrolled: 1-line block ×4, first 2 shown]
	global_store_dwordx4 v[22:23], v[10:13], off
	global_store_dwordx4 v[22:23], v[6:9], off offset:16
	s_cbranch_scc1 .LBB19_1
.LBB19_4:                               ;   Parent Loop BB19_2 Depth=1
                                        ; =>  This Loop Header: Depth=2
                                        ;       Child Loop BB19_6 Depth 3
	v_mov_b32_e32 v18, 0
	v_mov_b32_e32 v19, 0
	;; [unrolled: 1-line block ×8, first 2 shown]
	s_mov_b64 s[10:11], 0
	s_mov_b32 s25, s23
	s_mov_b64 s[12:13], s[8:9]
	s_mov_b32 s26, s20
	s_mov_b64 s[14:15], s[6:7]
	s_branch .LBB19_6
.LBB19_5:                               ;   in Loop: Header=BB19_6 Depth=3
	s_andn2_b32 vcc_lo, exec_lo, s27
	s_cbranch_vccz .LBB19_3
.LBB19_6:                               ;   Parent Loop BB19_2 Depth=1
                                        ;     Parent Loop BB19_4 Depth=2
                                        ; =>    This Inner Loop Header: Depth=3
	v_add_nc_u32_e32 v5, s26, v0
	v_add_co_u32 v10, vcc_lo, v3, s10
	v_add_co_ci_u32_e64 v11, null, s11, v4, vcc_lo
	v_ashrrev_i32_e32 v6, 31, v5
	s_add_u32 s16, s4, s14
	s_addc_u32 s17, s5, s15
	s_add_u32 s18, s4, s12
	s_addc_u32 s19, s5, s13
	v_lshlrev_b64 v[12:13], 4, v[5:6]
	global_load_dwordx4 v[6:9], v[10:11], off
	s_cmpk_eq_i32 s10, 0x540
	v_add_co_u32 v26, vcc_lo, s0, v12
	v_add_co_ci_u32_e64 v27, null, s1, v13, vcc_lo
	global_load_dwordx4 v[10:13], v[10:11], off offset:16
	s_clause 0x1
	global_load_dwordx4 v[22:25], v[26:27], off
	global_load_dwordx4 v[26:29], v[26:27], off offset:16
	s_clause 0x3
	s_load_dword s27, s[16:17], 0x0
	s_load_dword s28, s[18:19], 0x0
	;; [unrolled: 1-line block ×4, first 2 shown]
	s_waitcnt vmcnt(3) lgkmcnt(0)
	v_fma_f32 v18, -v6, s27, v18
	v_fma_f32 v19, -v7, s27, v19
	;; [unrolled: 1-line block ×4, first 2 shown]
	s_waitcnt vmcnt(2)
	v_fmac_f32_e32 v14, s27, v10
	v_fmac_f32_e32 v15, s27, v11
	;; [unrolled: 1-line block ×4, first 2 shown]
	s_waitcnt vmcnt(1)
	v_fmac_f32_e32 v21, s28, v25
	v_fmac_f32_e32 v20, s28, v24
	;; [unrolled: 1-line block ×4, first 2 shown]
	v_fma_f32 v17, -v25, s29, v17
	v_fma_f32 v16, -v24, s29, v16
	;; [unrolled: 1-line block ×4, first 2 shown]
	v_fmac_f32_e32 v18, s30, v10
	v_fmac_f32_e32 v19, s30, v11
	;; [unrolled: 1-line block ×8, first 2 shown]
	s_waitcnt vmcnt(0)
	v_fma_f32 v9, -v29, s29, v21
	v_fma_f32 v8, -v28, s29, v20
	;; [unrolled: 1-line block ×8, first 2 shown]
	s_mov_b32 s27, -1
                                        ; implicit-def: $vgpr17
                                        ; implicit-def: $vgpr16
                                        ; implicit-def: $vgpr15
                                        ; implicit-def: $vgpr14
                                        ; implicit-def: $vgpr21
                                        ; implicit-def: $vgpr20
                                        ; implicit-def: $vgpr19
                                        ; implicit-def: $vgpr18
	s_cbranch_scc1 .LBB19_5
; %bb.7:                                ;   in Loop: Header=BB19_6 Depth=3
	v_add_nc_u32_e32 v14, s25, v0
	v_add_nc_u32_e32 v16, 2, v5
	v_mov_b32_e32 v5, v10
	s_add_u32 s14, s14, 8
	s_addc_u32 s15, s15, 0
	v_ashrrev_i32_e32 v15, 31, v14
	v_ashrrev_i32_e32 v17, 31, v16
	s_add_u32 s10, s10, 0x1c0
	s_addc_u32 s11, s11, 0
	s_add_i32 s26, s26, 4
	v_lshlrev_b64 v[14:15], 4, v[14:15]
	v_lshlrev_b64 v[20:21], 4, v[16:17]
	s_add_u32 s12, s12, 56
	s_addc_u32 s13, s13, 0
	s_add_i32 s25, s25, 28
	v_add_co_u32 v18, vcc_lo, s0, v14
	v_add_co_ci_u32_e64 v19, null, s1, v15, vcc_lo
	v_add_co_u32 v26, vcc_lo, s0, v20
	v_add_co_ci_u32_e64 v27, null, s1, v21, vcc_lo
	s_clause 0x3
	global_load_dwordx4 v[14:17], v[18:19], off
	global_load_dwordx4 v[18:21], v[18:19], off offset:16
	global_load_dwordx4 v[22:25], v[26:27], off
	global_load_dwordx4 v[26:29], v[26:27], off offset:16
	s_clause 0x3
	s_load_dword s27, s[16:17], 0x4
	s_load_dword s28, s[18:19], 0x1c
	;; [unrolled: 1-line block ×4, first 2 shown]
	s_waitcnt vmcnt(2) lgkmcnt(0)
	v_fma_f32 v34, s27, v21, v13
	v_fma_f32 v30, -v17, s27, v9
	v_fma_f32 v31, -v16, s27, v8
	;; [unrolled: 1-line block ×4, first 2 shown]
	v_fma_f32 v35, s27, v20, v12
	v_fma_f32 v36, s27, v19, v11
	v_fmac_f32_e32 v5, s27, v18
	s_waitcnt vmcnt(1)
	v_fmac_f32_e32 v32, s28, v23
	v_fmac_f32_e32 v33, s28, v22
	;; [unrolled: 1-line block ×4, first 2 shown]
	v_fma_f32 v5, -v22, s18, v5
	v_fma_f32 v22, -v23, s18, v36
	;; [unrolled: 1-line block ×4, first 2 shown]
	v_fmac_f32_e32 v30, s16, v21
	v_fmac_f32_e32 v31, s16, v20
	;; [unrolled: 1-line block ×8, first 2 shown]
	s_waitcnt vmcnt(0)
	v_fma_f32 v18, -v26, s18, v33
	v_fma_f32 v19, -v27, s18, v32
	;; [unrolled: 1-line block ×8, first 2 shown]
	s_mov_b32 s27, 0
	s_branch .LBB19_5
.LBB19_8:
	s_endpgm
	.section	.rodata,"a",@progbits
	.p2align	6, 0x0
	.amdhsa_kernel _Z41comm_manual_aosoa_constants_perm_prefetchPK15HIP_vector_typeIfLj2EEPS0_S2_
		.amdhsa_group_segment_fixed_size 0
		.amdhsa_private_segment_fixed_size 0
		.amdhsa_kernarg_size 280
		.amdhsa_user_sgpr_count 6
		.amdhsa_user_sgpr_private_segment_buffer 1
		.amdhsa_user_sgpr_dispatch_ptr 0
		.amdhsa_user_sgpr_queue_ptr 0
		.amdhsa_user_sgpr_kernarg_segment_ptr 1
		.amdhsa_user_sgpr_dispatch_id 0
		.amdhsa_user_sgpr_flat_scratch_init 0
		.amdhsa_user_sgpr_private_segment_size 0
		.amdhsa_wavefront_size32 1
		.amdhsa_uses_dynamic_stack 0
		.amdhsa_system_sgpr_private_segment_wavefront_offset 0
		.amdhsa_system_sgpr_workgroup_id_x 1
		.amdhsa_system_sgpr_workgroup_id_y 0
		.amdhsa_system_sgpr_workgroup_id_z 0
		.amdhsa_system_sgpr_workgroup_info 0
		.amdhsa_system_vgpr_workitem_id 0
		.amdhsa_next_free_vgpr 37
		.amdhsa_next_free_sgpr 31
		.amdhsa_reserve_vcc 1
		.amdhsa_reserve_flat_scratch 0
		.amdhsa_float_round_mode_32 0
		.amdhsa_float_round_mode_16_64 0
		.amdhsa_float_denorm_mode_32 3
		.amdhsa_float_denorm_mode_16_64 3
		.amdhsa_dx10_clamp 1
		.amdhsa_ieee_mode 1
		.amdhsa_fp16_overflow 0
		.amdhsa_workgroup_processor_mode 1
		.amdhsa_memory_ordered 1
		.amdhsa_forward_progress 1
		.amdhsa_shared_vgpr_count 0
		.amdhsa_exception_fp_ieee_invalid_op 0
		.amdhsa_exception_fp_denorm_src 0
		.amdhsa_exception_fp_ieee_div_zero 0
		.amdhsa_exception_fp_ieee_overflow 0
		.amdhsa_exception_fp_ieee_underflow 0
		.amdhsa_exception_fp_ieee_inexact 0
		.amdhsa_exception_int_div_zero 0
	.end_amdhsa_kernel
	.text
.Lfunc_end19:
	.size	_Z41comm_manual_aosoa_constants_perm_prefetchPK15HIP_vector_typeIfLj2EEPS0_S2_, .Lfunc_end19-_Z41comm_manual_aosoa_constants_perm_prefetchPK15HIP_vector_typeIfLj2EEPS0_S2_
                                        ; -- End function
	.set _Z41comm_manual_aosoa_constants_perm_prefetchPK15HIP_vector_typeIfLj2EEPS0_S2_.num_vgpr, 37
	.set _Z41comm_manual_aosoa_constants_perm_prefetchPK15HIP_vector_typeIfLj2EEPS0_S2_.num_agpr, 0
	.set _Z41comm_manual_aosoa_constants_perm_prefetchPK15HIP_vector_typeIfLj2EEPS0_S2_.numbered_sgpr, 31
	.set _Z41comm_manual_aosoa_constants_perm_prefetchPK15HIP_vector_typeIfLj2EEPS0_S2_.num_named_barrier, 0
	.set _Z41comm_manual_aosoa_constants_perm_prefetchPK15HIP_vector_typeIfLj2EEPS0_S2_.private_seg_size, 0
	.set _Z41comm_manual_aosoa_constants_perm_prefetchPK15HIP_vector_typeIfLj2EEPS0_S2_.uses_vcc, 1
	.set _Z41comm_manual_aosoa_constants_perm_prefetchPK15HIP_vector_typeIfLj2EEPS0_S2_.uses_flat_scratch, 0
	.set _Z41comm_manual_aosoa_constants_perm_prefetchPK15HIP_vector_typeIfLj2EEPS0_S2_.has_dyn_sized_stack, 0
	.set _Z41comm_manual_aosoa_constants_perm_prefetchPK15HIP_vector_typeIfLj2EEPS0_S2_.has_recursion, 0
	.set _Z41comm_manual_aosoa_constants_perm_prefetchPK15HIP_vector_typeIfLj2EEPS0_S2_.has_indirect_call, 0
	.section	.AMDGPU.csdata,"",@progbits
; Kernel info:
; codeLenInByte = 1140
; TotalNumSgprs: 33
; NumVgprs: 37
; ScratchSize: 0
; MemoryBound: 0
; FloatMode: 240
; IeeeMode: 1
; LDSByteSize: 0 bytes/workgroup (compile time only)
; SGPRBlocks: 0
; VGPRBlocks: 4
; NumSGPRsForWavesPerEU: 33
; NumVGPRsForWavesPerEU: 37
; Occupancy: 16
; WaveLimiterHint : 0
; COMPUTE_PGM_RSRC2:SCRATCH_EN: 0
; COMPUTE_PGM_RSRC2:USER_SGPR: 6
; COMPUTE_PGM_RSRC2:TRAP_HANDLER: 0
; COMPUTE_PGM_RSRC2:TGID_X_EN: 1
; COMPUTE_PGM_RSRC2:TGID_Y_EN: 0
; COMPUTE_PGM_RSRC2:TGID_Z_EN: 0
; COMPUTE_PGM_RSRC2:TIDIG_COMP_CNT: 0
	.text
	.protected	_Z24comm_manual_aosoa_directPK15HIP_vector_typeIfLj2EEPS0_S2_i ; -- Begin function _Z24comm_manual_aosoa_directPK15HIP_vector_typeIfLj2EEPS0_S2_i
	.globl	_Z24comm_manual_aosoa_directPK15HIP_vector_typeIfLj2EEPS0_S2_i
	.p2align	8
	.type	_Z24comm_manual_aosoa_directPK15HIP_vector_typeIfLj2EEPS0_S2_i,@function
_Z24comm_manual_aosoa_directPK15HIP_vector_typeIfLj2EEPS0_S2_i: ; @_Z24comm_manual_aosoa_directPK15HIP_vector_typeIfLj2EEPS0_S2_i
; %bb.0:
	s_load_dword s8, s[4:5], 0x18
	s_waitcnt lgkmcnt(0)
	s_cmp_lt_i32 s8, 1
	s_cbranch_scc1 .LBB20_7
; %bb.1:
	s_load_dword s0, s[4:5], 0x2c
	s_mul_i32 s22, s8, s8
	s_mov_b32 s24, 0
	s_mov_b32 s23, s22
	s_waitcnt lgkmcnt(0)
	s_and_b32 s0, s0, 0xffff
	v_mad_u64_u32 v[0:1], null, s6, s0, v[0:1]
	s_clause 0x1
	s_load_dwordx2 s[6:7], s[4:5], 0x10
	s_load_dwordx4 s[0:3], s[4:5], 0x0
	s_mov_b32 s5, 0
	s_mov_b32 s9, s5
	s_lshl_b64 s[10:11], s[8:9], 2
	v_mul_lo_u32 v1, s22, v0
	v_mul_lo_u32 v0, s8, v0
	s_lshl_b32 s9, s8, 1
	v_lshlrev_b32_e32 v16, 1, v1
	v_mul_lo_u32 v8, v0, s8
	s_waitcnt lgkmcnt(0)
	s_mov_b64 s[12:13], s[6:7]
	v_mov_b32_e32 v17, v16
.LBB20_2:                               ; =>This Loop Header: Depth=1
                                        ;     Child Loop BB20_3 Depth 2
                                        ;       Child Loop BB20_4 Depth 3
	v_mad_u64_u32 v[9:10], null, s24, s8, v[8:9]
	v_mov_b32_e32 v18, v16
	s_mov_b64 s[14:15], s[6:7]
	s_mov_b32 s25, s22
	s_mov_b32 s26, s5
.LBB20_3:                               ;   Parent Loop BB20_2 Depth=1
                                        ; =>  This Loop Header: Depth=2
                                        ;       Child Loop BB20_4 Depth 3
	v_add_lshl_u32 v0, v9, s26, 1
	v_mov_b32_e32 v12, v17
	v_mov_b32_e32 v14, v18
	s_mov_b32 s27, 0
	s_mov_b64 s[16:17], s[12:13]
	v_ashrrev_i32_e32 v1, 31, v0
	s_mov_b64 s[18:19], s[14:15]
	s_mov_b32 s20, s25
	v_lshlrev_b64 v[0:1], 4, v[0:1]
	v_add_co_u32 v10, vcc_lo, s2, v0
	v_add_co_ci_u32_e64 v11, null, s3, v1, vcc_lo
	s_clause 0x1
	global_load_dwordx4 v[4:7], v[10:11], off offset:16
	global_load_dwordx4 v[0:3], v[10:11], off
.LBB20_4:                               ;   Parent Loop BB20_2 Depth=1
                                        ;     Parent Loop BB20_3 Depth=2
                                        ; =>    This Inner Loop Header: Depth=3
	v_ashrrev_i32_e32 v15, 31, v14
	v_ashrrev_i32_e32 v13, 31, v12
	s_add_i32 s4, s23, s27
	s_lshl_b64 s[28:29], s[4:5], 2
	v_lshlrev_b64 v[19:20], 4, v[14:15]
	v_lshlrev_b64 v[21:22], 4, v[12:13]
	s_add_u32 s28, s6, s28
	s_addc_u32 s29, s7, s29
	s_ashr_i32 s21, s20, 31
	v_add_nc_u32_e32 v14, s9, v14
	v_add_co_u32 v23, vcc_lo, s0, v19
	v_add_co_ci_u32_e64 v24, null, s1, v20, vcc_lo
	v_add_co_u32 v31, vcc_lo, s0, v21
	v_add_co_ci_u32_e64 v32, null, s1, v22, vcc_lo
	s_clause 0x3
	global_load_dwordx4 v[19:22], v[23:24], off
	global_load_dwordx4 v[23:26], v[23:24], off offset:16
	global_load_dwordx4 v[27:30], v[31:32], off
	global_load_dwordx4 v[31:34], v[31:32], off offset:16
	s_load_dword s33, s[16:17], 0x0
	s_lshl_b64 s[30:31], s[20:21], 2
	s_load_dword s4, s[28:29], 0x0
	s_add_u32 s28, s6, s30
	s_addc_u32 s29, s7, s31
	s_load_dword s34, s[18:19], 0x0
	s_load_dword s21, s[28:29], 0x0
	s_add_i32 s27, s27, 1
	s_add_i32 s20, s20, s8
	s_add_u32 s18, s18, s10
	v_add_nc_u32_e32 v12, 2, v12
	s_addc_u32 s19, s19, s11
	s_add_u32 s16, s16, 4
	s_addc_u32 s17, s17, 0
	s_cmp_eq_u32 s8, s27
	s_waitcnt vmcnt(3) lgkmcnt(0)
	v_fma_f32 v4, -v19, s33, v4
	v_fma_f32 v5, -v20, s33, v5
	;; [unrolled: 1-line block ×4, first 2 shown]
	s_waitcnt vmcnt(2)
	v_fma_f32 v0, s33, v23, v0
	v_fma_f32 v1, s33, v24, v1
	;; [unrolled: 1-line block ×3, first 2 shown]
	v_fmac_f32_e32 v3, s33, v26
	s_waitcnt vmcnt(1)
	v_fmac_f32_e32 v7, s34, v30
	v_fmac_f32_e32 v6, s34, v29
	;; [unrolled: 1-line block ×4, first 2 shown]
	v_fma_f32 v3, -v30, s21, v3
	v_fma_f32 v2, -v29, s21, v2
	;; [unrolled: 1-line block ×4, first 2 shown]
	v_fmac_f32_e32 v4, s4, v23
	v_fmac_f32_e32 v5, s4, v24
	v_fmac_f32_e32 v6, s4, v25
	v_fmac_f32_e32 v7, s4, v26
	v_fmac_f32_e32 v0, s4, v19
	v_fmac_f32_e32 v1, s4, v20
	v_fmac_f32_e32 v2, s4, v21
	v_fmac_f32_e32 v3, s4, v22
	s_waitcnt vmcnt(0)
	v_fma_f32 v7, -v34, s21, v7
	v_fma_f32 v6, -v33, s21, v6
	;; [unrolled: 1-line block ×8, first 2 shown]
	s_cbranch_scc0 .LBB20_4
; %bb.5:                                ;   in Loop: Header=BB20_3 Depth=2
	s_add_i32 s26, s26, 1
	s_add_i32 s25, s25, 1
	v_add_nc_u32_e32 v18, 2, v18
	s_add_u32 s14, s14, 4
	s_addc_u32 s15, s15, 0
	s_cmp_eq_u32 s26, s8
	global_store_dwordx4 v[10:11], v[4:7], off offset:16
	global_store_dwordx4 v[10:11], v[0:3], off
	s_cbranch_scc0 .LBB20_3
; %bb.6:                                ;   in Loop: Header=BB20_2 Depth=1
	s_add_i32 s24, s24, 1
	s_add_i32 s23, s23, s8
	v_add_nc_u32_e32 v17, s9, v17
	s_add_u32 s12, s12, s10
	s_addc_u32 s13, s13, s11
	s_cmp_eq_u32 s24, s8
	s_cbranch_scc0 .LBB20_2
.LBB20_7:
	s_endpgm
	.section	.rodata,"a",@progbits
	.p2align	6, 0x0
	.amdhsa_kernel _Z24comm_manual_aosoa_directPK15HIP_vector_typeIfLj2EEPS0_S2_i
		.amdhsa_group_segment_fixed_size 0
		.amdhsa_private_segment_fixed_size 0
		.amdhsa_kernarg_size 288
		.amdhsa_user_sgpr_count 6
		.amdhsa_user_sgpr_private_segment_buffer 1
		.amdhsa_user_sgpr_dispatch_ptr 0
		.amdhsa_user_sgpr_queue_ptr 0
		.amdhsa_user_sgpr_kernarg_segment_ptr 1
		.amdhsa_user_sgpr_dispatch_id 0
		.amdhsa_user_sgpr_flat_scratch_init 0
		.amdhsa_user_sgpr_private_segment_size 0
		.amdhsa_wavefront_size32 1
		.amdhsa_uses_dynamic_stack 0
		.amdhsa_system_sgpr_private_segment_wavefront_offset 0
		.amdhsa_system_sgpr_workgroup_id_x 1
		.amdhsa_system_sgpr_workgroup_id_y 0
		.amdhsa_system_sgpr_workgroup_id_z 0
		.amdhsa_system_sgpr_workgroup_info 0
		.amdhsa_system_vgpr_workitem_id 0
		.amdhsa_next_free_vgpr 35
		.amdhsa_next_free_sgpr 35
		.amdhsa_reserve_vcc 1
		.amdhsa_reserve_flat_scratch 0
		.amdhsa_float_round_mode_32 0
		.amdhsa_float_round_mode_16_64 0
		.amdhsa_float_denorm_mode_32 3
		.amdhsa_float_denorm_mode_16_64 3
		.amdhsa_dx10_clamp 1
		.amdhsa_ieee_mode 1
		.amdhsa_fp16_overflow 0
		.amdhsa_workgroup_processor_mode 1
		.amdhsa_memory_ordered 1
		.amdhsa_forward_progress 1
		.amdhsa_shared_vgpr_count 0
		.amdhsa_exception_fp_ieee_invalid_op 0
		.amdhsa_exception_fp_denorm_src 0
		.amdhsa_exception_fp_ieee_div_zero 0
		.amdhsa_exception_fp_ieee_overflow 0
		.amdhsa_exception_fp_ieee_underflow 0
		.amdhsa_exception_fp_ieee_inexact 0
		.amdhsa_exception_int_div_zero 0
	.end_amdhsa_kernel
	.text
.Lfunc_end20:
	.size	_Z24comm_manual_aosoa_directPK15HIP_vector_typeIfLj2EEPS0_S2_i, .Lfunc_end20-_Z24comm_manual_aosoa_directPK15HIP_vector_typeIfLj2EEPS0_S2_i
                                        ; -- End function
	.set _Z24comm_manual_aosoa_directPK15HIP_vector_typeIfLj2EEPS0_S2_i.num_vgpr, 35
	.set _Z24comm_manual_aosoa_directPK15HIP_vector_typeIfLj2EEPS0_S2_i.num_agpr, 0
	.set _Z24comm_manual_aosoa_directPK15HIP_vector_typeIfLj2EEPS0_S2_i.numbered_sgpr, 35
	.set _Z24comm_manual_aosoa_directPK15HIP_vector_typeIfLj2EEPS0_S2_i.num_named_barrier, 0
	.set _Z24comm_manual_aosoa_directPK15HIP_vector_typeIfLj2EEPS0_S2_i.private_seg_size, 0
	.set _Z24comm_manual_aosoa_directPK15HIP_vector_typeIfLj2EEPS0_S2_i.uses_vcc, 1
	.set _Z24comm_manual_aosoa_directPK15HIP_vector_typeIfLj2EEPS0_S2_i.uses_flat_scratch, 0
	.set _Z24comm_manual_aosoa_directPK15HIP_vector_typeIfLj2EEPS0_S2_i.has_dyn_sized_stack, 0
	.set _Z24comm_manual_aosoa_directPK15HIP_vector_typeIfLj2EEPS0_S2_i.has_recursion, 0
	.set _Z24comm_manual_aosoa_directPK15HIP_vector_typeIfLj2EEPS0_S2_i.has_indirect_call, 0
	.section	.AMDGPU.csdata,"",@progbits
; Kernel info:
; codeLenInByte = 732
; TotalNumSgprs: 37
; NumVgprs: 35
; ScratchSize: 0
; MemoryBound: 1
; FloatMode: 240
; IeeeMode: 1
; LDSByteSize: 0 bytes/workgroup (compile time only)
; SGPRBlocks: 0
; VGPRBlocks: 4
; NumSGPRsForWavesPerEU: 37
; NumVGPRsForWavesPerEU: 35
; Occupancy: 16
; WaveLimiterHint : 0
; COMPUTE_PGM_RSRC2:SCRATCH_EN: 0
; COMPUTE_PGM_RSRC2:USER_SGPR: 6
; COMPUTE_PGM_RSRC2:TRAP_HANDLER: 0
; COMPUTE_PGM_RSRC2:TGID_X_EN: 1
; COMPUTE_PGM_RSRC2:TGID_Y_EN: 0
; COMPUTE_PGM_RSRC2:TGID_Z_EN: 0
; COMPUTE_PGM_RSRC2:TIDIG_COMP_CNT: 0
	.text
	.protected	_Z34comm_manual_aosoa_constants_directPK15HIP_vector_typeIfLj2EEPS0_S2_ ; -- Begin function _Z34comm_manual_aosoa_constants_directPK15HIP_vector_typeIfLj2EEPS0_S2_
	.globl	_Z34comm_manual_aosoa_constants_directPK15HIP_vector_typeIfLj2EEPS0_S2_
	.p2align	8
	.type	_Z34comm_manual_aosoa_constants_directPK15HIP_vector_typeIfLj2EEPS0_S2_,@function
_Z34comm_manual_aosoa_constants_directPK15HIP_vector_typeIfLj2EEPS0_S2_: ; @_Z34comm_manual_aosoa_constants_directPK15HIP_vector_typeIfLj2EEPS0_S2_
; %bb.0:
	s_load_dword s0, s[4:5], 0x24
	s_mov_b32 s20, 0
	s_waitcnt lgkmcnt(0)
	s_and_b32 s0, s0, 0xffff
	v_mad_u64_u32 v[0:1], null, s6, s0, v[0:1]
	s_clause 0x1
	s_load_dwordx4 s[0:3], s[4:5], 0x0
	s_load_dwordx2 s[4:5], s[4:5], 0x10
	s_mov_b64 s[6:7], 0
	v_mul_lo_u32 v16, 0x62, v0
	v_ashrrev_i32_e32 v17, 31, v16
	v_add_nc_u32_e32 v32, 14, v16
	v_mov_b32_e32 v19, v16
	v_lshlrev_b64 v[0:1], 4, v[16:17]
	s_waitcnt lgkmcnt(0)
	s_add_u32 s18, s0, 16
	s_addc_u32 s19, s1, 0
	v_add_co_u32 v0, vcc_lo, s0, v0
	v_add_co_ci_u32_e64 v1, null, s1, v1, vcc_lo
	v_add_co_u32 v17, vcc_lo, v0, 16
	v_add_co_ci_u32_e64 v18, null, 0, v1, vcc_lo
	s_branch .LBB21_2
.LBB21_1:                               ;   in Loop: Header=BB21_2 Depth=1
	s_add_i32 s20, s20, 1
	v_add_nc_u32_e32 v19, 14, v19
	s_add_u32 s6, s6, 28
	s_addc_u32 s7, s7, 0
	s_cmp_eq_u32 s20, 7
	s_cbranch_scc1 .LBB21_8
.LBB21_2:                               ; =>This Loop Header: Depth=1
                                        ;     Child Loop BB21_4 Depth 2
                                        ;       Child Loop BB21_6 Depth 3
	v_ashrrev_i32_e32 v20, 31, v19
	v_mov_b32_e32 v33, v32
	s_mul_i32 s21, s20, 7
	s_mov_b64 s[8:9], 0
	s_mov_b32 s22, 0
	v_lshlrev_b64 v[0:1], 4, v[19:20]
	v_mov_b32_e32 v21, v18
	v_mov_b32_e32 v20, v17
	v_add_co_u32 v22, vcc_lo, s18, v0
	v_add_co_ci_u32_e64 v23, null, s19, v1, vcc_lo
	s_branch .LBB21_4
.LBB21_3:                               ;   in Loop: Header=BB21_4 Depth=2
	v_add_co_u32 v20, vcc_lo, v20, 32
	s_add_i32 s22, s22, 1
	v_add_nc_u32_e32 v33, 2, v33
	v_add_co_ci_u32_e64 v21, null, 0, v21, vcc_lo
	s_add_u32 s8, s8, 4
	s_addc_u32 s9, s9, 0
	s_cmp_eq_u32 s22, 7
	global_store_dwordx4 v[24:25], v[0:3], off offset:16
	global_store_dwordx4 v[24:25], v[4:7], off
	s_cbranch_scc1 .LBB21_1
.LBB21_4:                               ;   Parent Loop BB21_2 Depth=1
                                        ; =>  This Loop Header: Depth=2
                                        ;       Child Loop BB21_6 Depth 3
	s_add_i32 s10, s22, s21
	v_mov_b32_e32 v29, v21
	v_lshl_add_u32 v0, s10, 1, v16
	v_mov_b32_e32 v31, v23
	v_mov_b32_e32 v28, v20
	;; [unrolled: 1-line block ×4, first 2 shown]
	v_ashrrev_i32_e32 v1, 31, v0
	s_mov_b32 s23, 2
	s_mov_b64 s[10:11], s[8:9]
	s_mov_b64 s[12:13], s[6:7]
	v_lshlrev_b64 v[0:1], 4, v[0:1]
	v_add_co_u32 v24, vcc_lo, s2, v0
	v_add_co_ci_u32_e64 v25, null, s3, v1, vcc_lo
	s_clause 0x1
	global_load_dwordx4 v[12:15], v[24:25], off offset:16
	global_load_dwordx4 v[8:11], v[24:25], off
	s_branch .LBB21_6
.LBB21_5:                               ;   in Loop: Header=BB21_6 Depth=3
	v_add_nc_u32_e32 v8, s23, v19
	v_ashrrev_i32_e32 v27, 31, v26
	s_add_u32 s12, s12, 8
	s_addc_u32 s13, s13, 0
	s_add_i32 s23, s23, 4
	v_ashrrev_i32_e32 v9, 31, v8
	v_lshlrev_b64 v[10:11], 4, v[26:27]
	v_add_nc_u32_e32 v26, 28, v26
	s_add_u32 s10, s10, 56
	s_addc_u32 s11, s11, 0
	v_lshlrev_b64 v[14:15], 4, v[8:9]
	v_add_co_u32 v12, vcc_lo, s0, v10
	v_add_co_ci_u32_e64 v13, null, s1, v11, vcc_lo
	v_add_co_u32 v38, vcc_lo, s0, v14
	v_add_co_ci_u32_e64 v39, null, s1, v15, vcc_lo
	global_load_dwordx4 v[8:11], v[12:13], off
	v_add_co_u32 v30, vcc_lo, v30, 64
	s_clause 0x2
	global_load_dwordx4 v[12:15], v[12:13], off offset:16
	global_load_dwordx4 v[34:37], v[38:39], off
	global_load_dwordx4 v[38:41], v[38:39], off offset:16
	s_clause 0x3
	s_load_dword s24, s[14:15], 0x4
	s_load_dword s25, s[16:17], 0x1c
	;; [unrolled: 1-line block ×4, first 2 shown]
	v_add_co_ci_u32_e64 v31, null, 0, v31, vcc_lo
	v_add_co_u32 v28, vcc_lo, 0x1c0, v28
	v_add_co_ci_u32_e64 v29, null, 0, v29, vcc_lo
	s_waitcnt vmcnt(3) lgkmcnt(0)
	v_fma_f32 v27, -v8, s24, v0
	v_fma_f32 v42, -v9, s24, v1
	;; [unrolled: 1-line block ×4, first 2 shown]
	s_waitcnt vmcnt(2)
	v_fma_f32 v45, s24, v12, v4
	v_fma_f32 v46, s24, v13, v5
	;; [unrolled: 1-line block ×4, first 2 shown]
	s_waitcnt vmcnt(1)
	v_fmac_f32_e32 v44, s25, v37
	v_fmac_f32_e32 v43, s25, v36
	;; [unrolled: 1-line block ×4, first 2 shown]
	v_fma_f32 v37, -v37, s16, v48
	v_fma_f32 v36, -v36, s16, v47
	;; [unrolled: 1-line block ×4, first 2 shown]
	v_fmac_f32_e32 v27, s14, v12
	v_fmac_f32_e32 v42, s14, v13
	v_fmac_f32_e32 v43, s14, v14
	v_fmac_f32_e32 v44, s14, v15
	v_fmac_f32_e32 v34, s14, v8
	v_fmac_f32_e32 v35, s14, v9
	v_fmac_f32_e32 v36, s14, v10
	v_fmac_f32_e32 v37, s14, v11
	s_waitcnt vmcnt(0)
	v_fma_f32 v15, -v41, s16, v44
	v_fma_f32 v14, -v40, s16, v43
	;; [unrolled: 1-line block ×8, first 2 shown]
	s_cbranch_execz .LBB21_3
.LBB21_6:                               ;   Parent Loop BB21_2 Depth=1
                                        ;     Parent Loop BB21_4 Depth=2
                                        ; =>    This Inner Loop Header: Depth=3
	s_clause 0x1
	global_load_dwordx4 v[0:3], v[28:29], off offset:-16
	global_load_dwordx4 v[4:7], v[28:29], off
	s_clause 0x1
	global_load_dwordx4 v[34:37], v[30:31], off offset:-16
	global_load_dwordx4 v[38:41], v[30:31], off
	s_add_u32 s14, s4, s12
	s_addc_u32 s15, s5, s13
	s_add_u32 s16, s4, s10
	s_load_dword s24, s[14:15], 0x0
	s_addc_u32 s17, s5, s11
	s_clause 0x2
	s_load_dword s25, s[16:17], 0x0
	s_load_dword s26, s[16:17], 0xc4
	s_load_dword s27, s[14:15], 0xc4
	s_cmp_eq_u32 s23, 14
	s_waitcnt vmcnt(3) lgkmcnt(0)
	v_fma_f32 v12, -v0, s24, v12
	v_fma_f32 v13, -v1, s24, v13
	;; [unrolled: 1-line block ×4, first 2 shown]
	s_waitcnt vmcnt(2)
	v_fma_f32 v8, s24, v4, v8
	v_fma_f32 v9, s24, v5, v9
	;; [unrolled: 1-line block ×3, first 2 shown]
	v_fmac_f32_e32 v11, s24, v7
	s_waitcnt vmcnt(1)
	v_fmac_f32_e32 v15, s25, v37
	v_fmac_f32_e32 v14, s25, v36
	;; [unrolled: 1-line block ×4, first 2 shown]
	v_fma_f32 v11, -v37, s26, v11
	v_fma_f32 v10, -v36, s26, v10
	;; [unrolled: 1-line block ×4, first 2 shown]
	v_fmac_f32_e32 v12, s27, v4
	v_fmac_f32_e32 v13, s27, v5
	;; [unrolled: 1-line block ×8, first 2 shown]
	s_waitcnt vmcnt(0)
	v_fma_f32 v3, -v41, s26, v15
	v_fma_f32 v2, -v40, s26, v14
	v_fma_f32 v1, -v39, s26, v13
	v_fma_f32 v0, -v38, s26, v12
	v_fma_f32 v7, -s25, v41, v11
	v_fma_f32 v6, -s25, v40, v10
	v_fma_f32 v5, -s25, v39, v9
	v_fma_f32 v4, -s25, v38, v8
	s_cbranch_scc0 .LBB21_5
; %bb.7:                                ;   in Loop: Header=BB21_4 Depth=2
                                        ; implicit-def: $vgpr8_vgpr9_vgpr10_vgpr11
                                        ; implicit-def: $vgpr12_vgpr13_vgpr14_vgpr15
                                        ; implicit-def: $sgpr12_sgpr13
                                        ; implicit-def: $sgpr23
                                        ; implicit-def: $sgpr10_sgpr11
                                        ; implicit-def: $vgpr26
                                        ; implicit-def: $vgpr30_vgpr31
                                        ; implicit-def: $vgpr28_vgpr29
	s_branch .LBB21_3
.LBB21_8:
	s_endpgm
	.section	.rodata,"a",@progbits
	.p2align	6, 0x0
	.amdhsa_kernel _Z34comm_manual_aosoa_constants_directPK15HIP_vector_typeIfLj2EEPS0_S2_
		.amdhsa_group_segment_fixed_size 0
		.amdhsa_private_segment_fixed_size 0
		.amdhsa_kernarg_size 280
		.amdhsa_user_sgpr_count 6
		.amdhsa_user_sgpr_private_segment_buffer 1
		.amdhsa_user_sgpr_dispatch_ptr 0
		.amdhsa_user_sgpr_queue_ptr 0
		.amdhsa_user_sgpr_kernarg_segment_ptr 1
		.amdhsa_user_sgpr_dispatch_id 0
		.amdhsa_user_sgpr_flat_scratch_init 0
		.amdhsa_user_sgpr_private_segment_size 0
		.amdhsa_wavefront_size32 1
		.amdhsa_uses_dynamic_stack 0
		.amdhsa_system_sgpr_private_segment_wavefront_offset 0
		.amdhsa_system_sgpr_workgroup_id_x 1
		.amdhsa_system_sgpr_workgroup_id_y 0
		.amdhsa_system_sgpr_workgroup_id_z 0
		.amdhsa_system_sgpr_workgroup_info 0
		.amdhsa_system_vgpr_workitem_id 0
		.amdhsa_next_free_vgpr 49
		.amdhsa_next_free_sgpr 28
		.amdhsa_reserve_vcc 1
		.amdhsa_reserve_flat_scratch 0
		.amdhsa_float_round_mode_32 0
		.amdhsa_float_round_mode_16_64 0
		.amdhsa_float_denorm_mode_32 3
		.amdhsa_float_denorm_mode_16_64 3
		.amdhsa_dx10_clamp 1
		.amdhsa_ieee_mode 1
		.amdhsa_fp16_overflow 0
		.amdhsa_workgroup_processor_mode 1
		.amdhsa_memory_ordered 1
		.amdhsa_forward_progress 1
		.amdhsa_shared_vgpr_count 0
		.amdhsa_exception_fp_ieee_invalid_op 0
		.amdhsa_exception_fp_denorm_src 0
		.amdhsa_exception_fp_ieee_div_zero 0
		.amdhsa_exception_fp_ieee_overflow 0
		.amdhsa_exception_fp_ieee_underflow 0
		.amdhsa_exception_fp_ieee_inexact 0
		.amdhsa_exception_int_div_zero 0
	.end_amdhsa_kernel
	.text
.Lfunc_end21:
	.size	_Z34comm_manual_aosoa_constants_directPK15HIP_vector_typeIfLj2EEPS0_S2_, .Lfunc_end21-_Z34comm_manual_aosoa_constants_directPK15HIP_vector_typeIfLj2EEPS0_S2_
                                        ; -- End function
	.set _Z34comm_manual_aosoa_constants_directPK15HIP_vector_typeIfLj2EEPS0_S2_.num_vgpr, 49
	.set _Z34comm_manual_aosoa_constants_directPK15HIP_vector_typeIfLj2EEPS0_S2_.num_agpr, 0
	.set _Z34comm_manual_aosoa_constants_directPK15HIP_vector_typeIfLj2EEPS0_S2_.numbered_sgpr, 28
	.set _Z34comm_manual_aosoa_constants_directPK15HIP_vector_typeIfLj2EEPS0_S2_.num_named_barrier, 0
	.set _Z34comm_manual_aosoa_constants_directPK15HIP_vector_typeIfLj2EEPS0_S2_.private_seg_size, 0
	.set _Z34comm_manual_aosoa_constants_directPK15HIP_vector_typeIfLj2EEPS0_S2_.uses_vcc, 1
	.set _Z34comm_manual_aosoa_constants_directPK15HIP_vector_typeIfLj2EEPS0_S2_.uses_flat_scratch, 0
	.set _Z34comm_manual_aosoa_constants_directPK15HIP_vector_typeIfLj2EEPS0_S2_.has_dyn_sized_stack, 0
	.set _Z34comm_manual_aosoa_constants_directPK15HIP_vector_typeIfLj2EEPS0_S2_.has_recursion, 0
	.set _Z34comm_manual_aosoa_constants_directPK15HIP_vector_typeIfLj2EEPS0_S2_.has_indirect_call, 0
	.section	.AMDGPU.csdata,"",@progbits
; Kernel info:
; codeLenInByte = 1116
; TotalNumSgprs: 30
; NumVgprs: 49
; ScratchSize: 0
; MemoryBound: 1
; FloatMode: 240
; IeeeMode: 1
; LDSByteSize: 0 bytes/workgroup (compile time only)
; SGPRBlocks: 0
; VGPRBlocks: 6
; NumSGPRsForWavesPerEU: 30
; NumVGPRsForWavesPerEU: 49
; Occupancy: 16
; WaveLimiterHint : 0
; COMPUTE_PGM_RSRC2:SCRATCH_EN: 0
; COMPUTE_PGM_RSRC2:USER_SGPR: 6
; COMPUTE_PGM_RSRC2:TRAP_HANDLER: 0
; COMPUTE_PGM_RSRC2:TGID_X_EN: 1
; COMPUTE_PGM_RSRC2:TGID_Y_EN: 0
; COMPUTE_PGM_RSRC2:TGID_Z_EN: 0
; COMPUTE_PGM_RSRC2:TIDIG_COMP_CNT: 0
	.text
	.protected	_Z43comm_manual_aosoa_constants_direct_prefetchPK15HIP_vector_typeIfLj2EEPS0_S2_ ; -- Begin function _Z43comm_manual_aosoa_constants_direct_prefetchPK15HIP_vector_typeIfLj2EEPS0_S2_
	.globl	_Z43comm_manual_aosoa_constants_direct_prefetchPK15HIP_vector_typeIfLj2EEPS0_S2_
	.p2align	8
	.type	_Z43comm_manual_aosoa_constants_direct_prefetchPK15HIP_vector_typeIfLj2EEPS0_S2_,@function
_Z43comm_manual_aosoa_constants_direct_prefetchPK15HIP_vector_typeIfLj2EEPS0_S2_: ; @_Z43comm_manual_aosoa_constants_direct_prefetchPK15HIP_vector_typeIfLj2EEPS0_S2_
; %bb.0:
	s_load_dword s0, s[4:5], 0x24
	s_mov_b32 s20, 0
	s_waitcnt lgkmcnt(0)
	s_and_b32 s0, s0, 0xffff
	v_mad_u64_u32 v[0:1], null, s6, s0, v[0:1]
	s_clause 0x1
	s_load_dwordx4 s[0:3], s[4:5], 0x0
	s_load_dwordx2 s[4:5], s[4:5], 0x10
	s_mov_b64 s[6:7], 0
	v_mul_lo_u32 v16, 0x62, v0
	v_ashrrev_i32_e32 v17, 31, v16
	v_add_nc_u32_e32 v32, 14, v16
	v_mov_b32_e32 v19, v16
	v_lshlrev_b64 v[0:1], 4, v[16:17]
	s_waitcnt lgkmcnt(0)
	s_add_u32 s18, s0, 16
	s_addc_u32 s19, s1, 0
	v_add_co_u32 v0, vcc_lo, s0, v0
	v_add_co_ci_u32_e64 v1, null, s1, v1, vcc_lo
	v_add_co_u32 v17, vcc_lo, v0, 16
	v_add_co_ci_u32_e64 v18, null, 0, v1, vcc_lo
	s_branch .LBB22_2
.LBB22_1:                               ;   in Loop: Header=BB22_2 Depth=1
	s_add_i32 s20, s20, 1
	v_add_nc_u32_e32 v19, 14, v19
	s_add_u32 s6, s6, 28
	s_addc_u32 s7, s7, 0
	s_cmp_eq_u32 s20, 7
	s_cbranch_scc1 .LBB22_8
.LBB22_2:                               ; =>This Loop Header: Depth=1
                                        ;     Child Loop BB22_4 Depth 2
                                        ;       Child Loop BB22_6 Depth 3
	v_ashrrev_i32_e32 v20, 31, v19
	v_mov_b32_e32 v33, v32
	s_mul_i32 s21, s20, 7
	s_mov_b64 s[8:9], 0
	s_mov_b32 s22, 0
	v_lshlrev_b64 v[0:1], 4, v[19:20]
	v_mov_b32_e32 v21, v18
	v_mov_b32_e32 v20, v17
	v_add_co_u32 v22, vcc_lo, s18, v0
	v_add_co_ci_u32_e64 v23, null, s19, v1, vcc_lo
	s_branch .LBB22_4
.LBB22_3:                               ;   in Loop: Header=BB22_4 Depth=2
	v_add_co_u32 v20, vcc_lo, v20, 32
	s_add_i32 s22, s22, 1
	v_add_nc_u32_e32 v33, 2, v33
	v_add_co_ci_u32_e64 v21, null, 0, v21, vcc_lo
	s_add_u32 s8, s8, 4
	s_addc_u32 s9, s9, 0
	s_cmp_eq_u32 s22, 7
	global_store_dwordx4 v[24:25], v[0:3], off offset:16
	global_store_dwordx4 v[24:25], v[4:7], off
	s_cbranch_scc1 .LBB22_1
.LBB22_4:                               ;   Parent Loop BB22_2 Depth=1
                                        ; =>  This Loop Header: Depth=2
                                        ;       Child Loop BB22_6 Depth 3
	s_add_i32 s10, s22, s21
	v_mov_b32_e32 v29, v21
	v_lshl_add_u32 v0, s10, 1, v16
	v_mov_b32_e32 v31, v23
	v_mov_b32_e32 v28, v20
	v_mov_b32_e32 v30, v22
	v_mov_b32_e32 v26, v33
	v_ashrrev_i32_e32 v1, 31, v0
	s_mov_b32 s23, 2
	s_mov_b64 s[10:11], s[8:9]
	s_mov_b64 s[12:13], s[6:7]
	v_lshlrev_b64 v[0:1], 4, v[0:1]
	v_add_co_u32 v24, vcc_lo, s2, v0
	v_add_co_ci_u32_e64 v25, null, s3, v1, vcc_lo
	s_clause 0x1
	global_load_dwordx4 v[12:15], v[24:25], off offset:16
	global_load_dwordx4 v[8:11], v[24:25], off
	s_branch .LBB22_6
.LBB22_5:                               ;   in Loop: Header=BB22_4 Depth=2
                                        ; implicit-def: $vgpr8_vgpr9_vgpr10_vgpr11
                                        ; implicit-def: $vgpr12_vgpr13_vgpr14_vgpr15
                                        ; implicit-def: $sgpr12_sgpr13
                                        ; implicit-def: $sgpr23
                                        ; implicit-def: $sgpr10_sgpr11
                                        ; implicit-def: $vgpr26
                                        ; implicit-def: $vgpr30_vgpr31
                                        ; implicit-def: $vgpr28_vgpr29
	s_branch .LBB22_3
.LBB22_6:                               ;   Parent Loop BB22_2 Depth=1
                                        ;     Parent Loop BB22_4 Depth=2
                                        ; =>    This Inner Loop Header: Depth=3
	s_clause 0x1
	global_load_dwordx4 v[0:3], v[28:29], off offset:-16
	global_load_dwordx4 v[4:7], v[28:29], off
	s_clause 0x1
	global_load_dwordx4 v[34:37], v[30:31], off offset:-16
	global_load_dwordx4 v[38:41], v[30:31], off
	s_add_u32 s14, s4, s12
	s_addc_u32 s15, s5, s13
	s_add_u32 s16, s4, s10
	s_load_dword s24, s[14:15], 0x0
	s_addc_u32 s17, s5, s11
	s_clause 0x2
	s_load_dword s25, s[16:17], 0x0
	s_load_dword s26, s[16:17], 0xc4
	;; [unrolled: 1-line block ×3, first 2 shown]
	s_cmp_eq_u32 s23, 14
	s_waitcnt vmcnt(3) lgkmcnt(0)
	v_fma_f32 v12, -v0, s24, v12
	v_fma_f32 v13, -v1, s24, v13
	;; [unrolled: 1-line block ×4, first 2 shown]
	s_waitcnt vmcnt(2)
	v_fma_f32 v8, s24, v4, v8
	v_fma_f32 v9, s24, v5, v9
	;; [unrolled: 1-line block ×3, first 2 shown]
	v_fmac_f32_e32 v11, s24, v7
	s_waitcnt vmcnt(1)
	v_fmac_f32_e32 v15, s25, v37
	v_fmac_f32_e32 v14, s25, v36
	;; [unrolled: 1-line block ×4, first 2 shown]
	v_fma_f32 v11, -v37, s26, v11
	v_fma_f32 v10, -v36, s26, v10
	;; [unrolled: 1-line block ×4, first 2 shown]
	v_fmac_f32_e32 v12, s27, v4
	v_fmac_f32_e32 v13, s27, v5
	;; [unrolled: 1-line block ×8, first 2 shown]
	s_waitcnt vmcnt(0)
	v_fma_f32 v3, -v41, s26, v15
	v_fma_f32 v2, -v40, s26, v14
	v_fma_f32 v1, -v39, s26, v13
	v_fma_f32 v0, -v38, s26, v12
	v_fma_f32 v7, -s25, v41, v11
	v_fma_f32 v6, -s25, v40, v10
	v_fma_f32 v5, -s25, v39, v9
	v_fma_f32 v4, -s25, v38, v8
	s_cbranch_scc1 .LBB22_5
; %bb.7:                                ;   in Loop: Header=BB22_6 Depth=3
	v_add_nc_u32_e32 v8, s23, v19
	v_ashrrev_i32_e32 v27, 31, v26
	s_add_u32 s12, s12, 8
	s_addc_u32 s13, s13, 0
	s_add_i32 s23, s23, 4
	v_ashrrev_i32_e32 v9, 31, v8
	v_lshlrev_b64 v[10:11], 4, v[26:27]
	s_add_u32 s10, s10, 56
	v_add_nc_u32_e32 v26, 28, v26
	s_addc_u32 s11, s11, 0
	v_lshlrev_b64 v[14:15], 4, v[8:9]
	v_add_co_u32 v12, vcc_lo, s0, v10
	v_add_co_ci_u32_e64 v13, null, s1, v11, vcc_lo
	v_add_co_u32 v38, vcc_lo, s0, v14
	v_add_co_ci_u32_e64 v39, null, s1, v15, vcc_lo
	global_load_dwordx4 v[8:11], v[12:13], off
	v_add_co_u32 v30, vcc_lo, v30, 64
	s_clause 0x2
	global_load_dwordx4 v[12:15], v[12:13], off offset:16
	global_load_dwordx4 v[34:37], v[38:39], off
	global_load_dwordx4 v[38:41], v[38:39], off offset:16
	s_clause 0x3
	s_load_dword s24, s[14:15], 0x4
	s_load_dword s25, s[16:17], 0x1c
	;; [unrolled: 1-line block ×4, first 2 shown]
	v_add_co_ci_u32_e64 v31, null, 0, v31, vcc_lo
	v_add_co_u32 v28, vcc_lo, 0x1c0, v28
	v_add_co_ci_u32_e64 v29, null, 0, v29, vcc_lo
	s_waitcnt vmcnt(3) lgkmcnt(0)
	v_fma_f32 v27, -v8, s24, v0
	v_fma_f32 v42, -v9, s24, v1
	;; [unrolled: 1-line block ×4, first 2 shown]
	s_waitcnt vmcnt(2)
	v_fma_f32 v45, s24, v12, v4
	v_fma_f32 v46, s24, v13, v5
	;; [unrolled: 1-line block ×4, first 2 shown]
	s_waitcnt vmcnt(1)
	v_fmac_f32_e32 v44, s25, v37
	v_fmac_f32_e32 v43, s25, v36
	v_fmac_f32_e32 v42, s25, v35
	v_fmac_f32_e32 v27, s25, v34
	v_fma_f32 v37, -v37, s16, v48
	v_fma_f32 v36, -v36, s16, v47
	;; [unrolled: 1-line block ×4, first 2 shown]
	v_fmac_f32_e32 v27, s14, v12
	v_fmac_f32_e32 v42, s14, v13
	;; [unrolled: 1-line block ×8, first 2 shown]
	s_waitcnt vmcnt(0)
	v_fma_f32 v15, -v41, s16, v44
	v_fma_f32 v14, -v40, s16, v43
	;; [unrolled: 1-line block ×8, first 2 shown]
	s_cbranch_execnz .LBB22_6
	s_branch .LBB22_3
.LBB22_8:
	s_endpgm
	.section	.rodata,"a",@progbits
	.p2align	6, 0x0
	.amdhsa_kernel _Z43comm_manual_aosoa_constants_direct_prefetchPK15HIP_vector_typeIfLj2EEPS0_S2_
		.amdhsa_group_segment_fixed_size 0
		.amdhsa_private_segment_fixed_size 0
		.amdhsa_kernarg_size 280
		.amdhsa_user_sgpr_count 6
		.amdhsa_user_sgpr_private_segment_buffer 1
		.amdhsa_user_sgpr_dispatch_ptr 0
		.amdhsa_user_sgpr_queue_ptr 0
		.amdhsa_user_sgpr_kernarg_segment_ptr 1
		.amdhsa_user_sgpr_dispatch_id 0
		.amdhsa_user_sgpr_flat_scratch_init 0
		.amdhsa_user_sgpr_private_segment_size 0
		.amdhsa_wavefront_size32 1
		.amdhsa_uses_dynamic_stack 0
		.amdhsa_system_sgpr_private_segment_wavefront_offset 0
		.amdhsa_system_sgpr_workgroup_id_x 1
		.amdhsa_system_sgpr_workgroup_id_y 0
		.amdhsa_system_sgpr_workgroup_id_z 0
		.amdhsa_system_sgpr_workgroup_info 0
		.amdhsa_system_vgpr_workitem_id 0
		.amdhsa_next_free_vgpr 49
		.amdhsa_next_free_sgpr 28
		.amdhsa_reserve_vcc 1
		.amdhsa_reserve_flat_scratch 0
		.amdhsa_float_round_mode_32 0
		.amdhsa_float_round_mode_16_64 0
		.amdhsa_float_denorm_mode_32 3
		.amdhsa_float_denorm_mode_16_64 3
		.amdhsa_dx10_clamp 1
		.amdhsa_ieee_mode 1
		.amdhsa_fp16_overflow 0
		.amdhsa_workgroup_processor_mode 1
		.amdhsa_memory_ordered 1
		.amdhsa_forward_progress 1
		.amdhsa_shared_vgpr_count 0
		.amdhsa_exception_fp_ieee_invalid_op 0
		.amdhsa_exception_fp_denorm_src 0
		.amdhsa_exception_fp_ieee_div_zero 0
		.amdhsa_exception_fp_ieee_overflow 0
		.amdhsa_exception_fp_ieee_underflow 0
		.amdhsa_exception_fp_ieee_inexact 0
		.amdhsa_exception_int_div_zero 0
	.end_amdhsa_kernel
	.text
.Lfunc_end22:
	.size	_Z43comm_manual_aosoa_constants_direct_prefetchPK15HIP_vector_typeIfLj2EEPS0_S2_, .Lfunc_end22-_Z43comm_manual_aosoa_constants_direct_prefetchPK15HIP_vector_typeIfLj2EEPS0_S2_
                                        ; -- End function
	.set _Z43comm_manual_aosoa_constants_direct_prefetchPK15HIP_vector_typeIfLj2EEPS0_S2_.num_vgpr, 49
	.set _Z43comm_manual_aosoa_constants_direct_prefetchPK15HIP_vector_typeIfLj2EEPS0_S2_.num_agpr, 0
	.set _Z43comm_manual_aosoa_constants_direct_prefetchPK15HIP_vector_typeIfLj2EEPS0_S2_.numbered_sgpr, 28
	.set _Z43comm_manual_aosoa_constants_direct_prefetchPK15HIP_vector_typeIfLj2EEPS0_S2_.num_named_barrier, 0
	.set _Z43comm_manual_aosoa_constants_direct_prefetchPK15HIP_vector_typeIfLj2EEPS0_S2_.private_seg_size, 0
	.set _Z43comm_manual_aosoa_constants_direct_prefetchPK15HIP_vector_typeIfLj2EEPS0_S2_.uses_vcc, 1
	.set _Z43comm_manual_aosoa_constants_direct_prefetchPK15HIP_vector_typeIfLj2EEPS0_S2_.uses_flat_scratch, 0
	.set _Z43comm_manual_aosoa_constants_direct_prefetchPK15HIP_vector_typeIfLj2EEPS0_S2_.has_dyn_sized_stack, 0
	.set _Z43comm_manual_aosoa_constants_direct_prefetchPK15HIP_vector_typeIfLj2EEPS0_S2_.has_recursion, 0
	.set _Z43comm_manual_aosoa_constants_direct_prefetchPK15HIP_vector_typeIfLj2EEPS0_S2_.has_indirect_call, 0
	.section	.AMDGPU.csdata,"",@progbits
; Kernel info:
; codeLenInByte = 1120
; TotalNumSgprs: 30
; NumVgprs: 49
; ScratchSize: 0
; MemoryBound: 1
; FloatMode: 240
; IeeeMode: 1
; LDSByteSize: 0 bytes/workgroup (compile time only)
; SGPRBlocks: 0
; VGPRBlocks: 6
; NumSGPRsForWavesPerEU: 30
; NumVGPRsForWavesPerEU: 49
; Occupancy: 16
; WaveLimiterHint : 0
; COMPUTE_PGM_RSRC2:SCRATCH_EN: 0
; COMPUTE_PGM_RSRC2:USER_SGPR: 6
; COMPUTE_PGM_RSRC2:TRAP_HANDLER: 0
; COMPUTE_PGM_RSRC2:TGID_X_EN: 1
; COMPUTE_PGM_RSRC2:TGID_Y_EN: 0
; COMPUTE_PGM_RSRC2:TGID_Z_EN: 0
; COMPUTE_PGM_RSRC2:TIDIG_COMP_CNT: 0
	.text
	.protected	_Z39comm_manual_aosoa_constants_direct_permPK15HIP_vector_typeIfLj2EEPS0_S2_ ; -- Begin function _Z39comm_manual_aosoa_constants_direct_permPK15HIP_vector_typeIfLj2EEPS0_S2_
	.globl	_Z39comm_manual_aosoa_constants_direct_permPK15HIP_vector_typeIfLj2EEPS0_S2_
	.p2align	8
	.type	_Z39comm_manual_aosoa_constants_direct_permPK15HIP_vector_typeIfLj2EEPS0_S2_,@function
_Z39comm_manual_aosoa_constants_direct_permPK15HIP_vector_typeIfLj2EEPS0_S2_: ; @_Z39comm_manual_aosoa_constants_direct_permPK15HIP_vector_typeIfLj2EEPS0_S2_
; %bb.0:
	s_load_dword s0, s[4:5], 0x24
	s_mov_b32 s7, 0
	s_mov_b32 s16, 0
	s_waitcnt lgkmcnt(0)
	s_and_b32 s0, s0, 0xffff
	v_mad_u64_u32 v[0:1], null, s6, s0, v[0:1]
	s_clause 0x1
	s_load_dwordx4 s[0:3], s[4:5], 0x0
	s_load_dwordx2 s[4:5], s[4:5], 0x10
	v_mul_lo_u32 v8, 0x62, v0
	v_ashrrev_i32_e32 v9, 31, v8
	v_add_nc_u32_e32 v25, 2, v8
	v_lshlrev_b64 v[0:1], 4, v[8:9]
	v_mov_b32_e32 v9, v8
	v_mov_b32_e32 v26, v25
	s_waitcnt lgkmcnt(0)
	s_add_u32 s14, s2, 16
	s_addc_u32 s15, s3, 0
	v_add_co_u32 v0, vcc_lo, s0, v0
	v_add_co_ci_u32_e64 v1, null, s1, v1, vcc_lo
	v_add_co_u32 v11, vcc_lo, v0, 16
	v_add_co_ci_u32_e64 v12, null, 0, v1, vcc_lo
	s_branch .LBB23_2
.LBB23_1:                               ;   in Loop: Header=BB23_2 Depth=1
	v_add_nc_u32_e32 v26, 14, v26
	v_add_nc_u32_e32 v9, 14, v9
	s_add_i32 s16, s16, 1
	s_cmp_eq_u32 s16, 7
	s_cbranch_scc1 .LBB23_8
.LBB23_2:                               ; =>This Loop Header: Depth=1
                                        ;     Child Loop BB23_4 Depth 2
                                        ;       Child Loop BB23_6 Depth 3
	v_ashrrev_i32_e32 v10, 31, v9
	v_mov_b32_e32 v14, v12
	v_mov_b32_e32 v13, v11
	s_mul_i32 s17, s16, 7
	s_mov_b64 s[8:9], s[4:5]
	v_lshlrev_b64 v[0:1], 4, v[9:10]
	v_mov_b32_e32 v10, v25
	s_mov_b32 s18, s7
	v_add_co_u32 v15, vcc_lo, s14, v0
	v_add_co_ci_u32_e64 v16, null, s15, v1, vcc_lo
	s_branch .LBB23_4
.LBB23_3:                               ;   in Loop: Header=BB23_4 Depth=2
	v_add_co_u32 v13, vcc_lo, 0xe0, v13
	s_add_i32 s18, s18, 1
	v_add_nc_u32_e32 v10, 14, v10
	v_add_co_ci_u32_e64 v14, null, 0, v14, vcc_lo
	s_add_u32 s8, s8, 28
	s_addc_u32 s9, s9, 0
	s_cmp_eq_u32 s18, 7
	s_cbranch_scc1 .LBB23_1
.LBB23_4:                               ;   Parent Loop BB23_2 Depth=1
                                        ; =>  This Loop Header: Depth=2
                                        ;       Child Loop BB23_6 Depth 3
	s_add_i32 s6, s18, s17
	v_mov_b32_e32 v18, v16
	v_lshl_add_u32 v0, s6, 1, v8
	s_lshl_b64 s[10:11], s[6:7], 2
	v_mov_b32_e32 v20, v14
	s_add_u32 s10, s4, s10
	s_addc_u32 s11, s5, s11
	v_ashrrev_i32_e32 v1, 31, v0
	v_mov_b32_e32 v17, v15
	v_mov_b32_e32 v19, v13
	;; [unrolled: 1-line block ×4, first 2 shown]
	v_lshlrev_b64 v[0:1], 4, v[0:1]
	v_add_co_u32 v4, vcc_lo, s0, v0
	v_add_co_ci_u32_e64 v5, null, s1, v1, vcc_lo
	s_clause 0x1
	global_load_dwordx4 v[0:3], v[4:5], off offset:16
	global_load_dwordx4 v[4:7], v[4:5], off
	s_clause 0x1
	s_load_dword s6, s[10:11], 0x0
	s_load_dword s19, s[10:11], 0xc4
	s_mov_b64 s[10:11], 0
	s_waitcnt lgkmcnt(0)
	s_mov_b32 s20, s6
	s_mov_b32 s21, s6
	;; [unrolled: 1-line block ×6, first 2 shown]
	s_branch .LBB23_6
.LBB23_5:                               ;   in Loop: Header=BB23_6 Depth=3
	s_andn2_b32 vcc_lo, exec_lo, s26
	s_cbranch_vccz .LBB23_3
.LBB23_6:                               ;   Parent Loop BB23_2 Depth=1
                                        ;     Parent Loop BB23_4 Depth=2
                                        ; =>    This Inner Loop Header: Depth=3
	global_load_dwordx4 v[27:30], v[17:18], off
	s_clause 0x1
	global_load_dwordx4 v[31:34], v[19:20], off offset:-16
	global_load_dwordx4 v[35:38], v[19:20], off
	global_load_dwordx4 v[39:42], v[17:18], off offset:-16
	s_add_u32 s12, s8, s10
	s_addc_u32 s13, s9, s11
	s_clause 0x1
	s_load_dword s26, s[12:13], 0x0
	s_load_dword s27, s[12:13], 0xc4
	s_cmp_eq_u32 s10, 24
	s_waitcnt vmcnt(2)
	v_fma_f32 v22, -s6, v31, v27
	v_fma_f32 v24, -s20, v32, v28
	;; [unrolled: 1-line block ×4, first 2 shown]
	s_waitcnt vmcnt(0)
	v_fma_f32 v29, s6, v35, v39
	v_fma_f32 v30, s20, v36, v40
	v_fma_f32 v39, s21, v37, v41
	v_fmac_f32_e32 v42, s22, v38
	s_waitcnt lgkmcnt(0)
	v_fmac_f32_e32 v28, s26, v7
	v_fmac_f32_e32 v27, s26, v6
	;; [unrolled: 1-line block ×4, first 2 shown]
	v_fma_f32 v40, -v7, s27, v42
	v_fma_f32 v39, -v6, s27, v39
	;; [unrolled: 1-line block ×4, first 2 shown]
	v_fmac_f32_e32 v22, s19, v35
	v_fmac_f32_e32 v24, s23, v36
	;; [unrolled: 1-line block ×8, first 2 shown]
	v_fma_f32 v30, -v3, s27, v28
	v_fma_f32 v29, -v2, s27, v27
	;; [unrolled: 1-line block ×8, first 2 shown]
	s_mov_b32 s26, -1
	global_store_dwordx4 v[17:18], v[27:30], off
	global_store_dwordx4 v[17:18], v[31:34], off offset:-16
	s_cbranch_scc1 .LBB23_5
; %bb.7:                                ;   in Loop: Header=BB23_6 Depth=3
	v_ashrrev_i32_e32 v22, 31, v21
	v_ashrrev_i32_e32 v24, 31, v23
	s_add_u32 s10, s10, 8
	s_addc_u32 s11, s11, 0
	v_lshlrev_b64 v[27:28], 4, v[21:22]
	v_lshlrev_b64 v[29:30], 4, v[23:24]
	v_add_nc_u32_e32 v23, 4, v23
	v_add_nc_u32_e32 v21, 4, v21
	v_add_co_u32 v43, vcc_lo, s2, v27
	v_add_co_ci_u32_e64 v44, null, s3, v28, vcc_lo
	v_add_co_u32 v35, vcc_lo, s0, v29
	v_add_co_ci_u32_e64 v36, null, s1, v30, vcc_lo
	global_load_dwordx4 v[27:30], v[43:44], off offset:16
	s_clause 0x1
	global_load_dwordx4 v[31:34], v[35:36], off
	global_load_dwordx4 v[35:38], v[35:36], off offset:16
	global_load_dwordx4 v[39:42], v[43:44], off
	s_clause 0x1
	s_load_dword s26, s[12:13], 0x4
	s_load_dword s12, s[12:13], 0xc8
	v_add_co_u32 v19, vcc_lo, v19, 64
	v_add_co_ci_u32_e64 v20, null, 0, v20, vcc_lo
	v_add_co_u32 v17, vcc_lo, v17, 64
	v_add_co_ci_u32_e64 v18, null, 0, v18, vcc_lo
	s_waitcnt vmcnt(2)
	v_fma_f32 v22, -s6, v31, v27
	v_fma_f32 v24, -s20, v32, v28
	;; [unrolled: 1-line block ×4, first 2 shown]
	s_waitcnt vmcnt(0)
	v_fma_f32 v29, s6, v35, v39
	v_fma_f32 v30, s20, v36, v40
	;; [unrolled: 1-line block ×3, first 2 shown]
	v_fmac_f32_e32 v42, s22, v38
	s_waitcnt lgkmcnt(0)
	v_fmac_f32_e32 v28, s26, v7
	v_fmac_f32_e32 v27, s26, v6
	;; [unrolled: 1-line block ×4, first 2 shown]
	v_fma_f32 v40, -v7, s12, v42
	v_fma_f32 v39, -v6, s12, v39
	;; [unrolled: 1-line block ×4, first 2 shown]
	v_fmac_f32_e32 v22, s19, v35
	v_fmac_f32_e32 v24, s23, v36
	v_fmac_f32_e32 v27, s24, v37
	v_fmac_f32_e32 v28, s25, v38
	v_fmac_f32_e32 v42, s19, v31
	v_fmac_f32_e32 v41, s23, v32
	v_fmac_f32_e32 v39, s24, v33
	v_fmac_f32_e32 v40, s25, v34
	v_fma_f32 v30, -v3, s12, v28
	v_fma_f32 v29, -v2, s12, v27
	;; [unrolled: 1-line block ×8, first 2 shown]
	s_mov_b32 s26, 0
	global_store_dwordx4 v[43:44], v[27:30], off offset:16
	global_store_dwordx4 v[43:44], v[31:34], off
	s_branch .LBB23_5
.LBB23_8:
	s_endpgm
	.section	.rodata,"a",@progbits
	.p2align	6, 0x0
	.amdhsa_kernel _Z39comm_manual_aosoa_constants_direct_permPK15HIP_vector_typeIfLj2EEPS0_S2_
		.amdhsa_group_segment_fixed_size 0
		.amdhsa_private_segment_fixed_size 0
		.amdhsa_kernarg_size 280
		.amdhsa_user_sgpr_count 6
		.amdhsa_user_sgpr_private_segment_buffer 1
		.amdhsa_user_sgpr_dispatch_ptr 0
		.amdhsa_user_sgpr_queue_ptr 0
		.amdhsa_user_sgpr_kernarg_segment_ptr 1
		.amdhsa_user_sgpr_dispatch_id 0
		.amdhsa_user_sgpr_flat_scratch_init 0
		.amdhsa_user_sgpr_private_segment_size 0
		.amdhsa_wavefront_size32 1
		.amdhsa_uses_dynamic_stack 0
		.amdhsa_system_sgpr_private_segment_wavefront_offset 0
		.amdhsa_system_sgpr_workgroup_id_x 1
		.amdhsa_system_sgpr_workgroup_id_y 0
		.amdhsa_system_sgpr_workgroup_id_z 0
		.amdhsa_system_sgpr_workgroup_info 0
		.amdhsa_system_vgpr_workitem_id 0
		.amdhsa_next_free_vgpr 45
		.amdhsa_next_free_sgpr 28
		.amdhsa_reserve_vcc 1
		.amdhsa_reserve_flat_scratch 0
		.amdhsa_float_round_mode_32 0
		.amdhsa_float_round_mode_16_64 0
		.amdhsa_float_denorm_mode_32 3
		.amdhsa_float_denorm_mode_16_64 3
		.amdhsa_dx10_clamp 1
		.amdhsa_ieee_mode 1
		.amdhsa_fp16_overflow 0
		.amdhsa_workgroup_processor_mode 1
		.amdhsa_memory_ordered 1
		.amdhsa_forward_progress 1
		.amdhsa_shared_vgpr_count 0
		.amdhsa_exception_fp_ieee_invalid_op 0
		.amdhsa_exception_fp_denorm_src 0
		.amdhsa_exception_fp_ieee_div_zero 0
		.amdhsa_exception_fp_ieee_overflow 0
		.amdhsa_exception_fp_ieee_underflow 0
		.amdhsa_exception_fp_ieee_inexact 0
		.amdhsa_exception_int_div_zero 0
	.end_amdhsa_kernel
	.text
.Lfunc_end23:
	.size	_Z39comm_manual_aosoa_constants_direct_permPK15HIP_vector_typeIfLj2EEPS0_S2_, .Lfunc_end23-_Z39comm_manual_aosoa_constants_direct_permPK15HIP_vector_typeIfLj2EEPS0_S2_
                                        ; -- End function
	.set _Z39comm_manual_aosoa_constants_direct_permPK15HIP_vector_typeIfLj2EEPS0_S2_.num_vgpr, 45
	.set _Z39comm_manual_aosoa_constants_direct_permPK15HIP_vector_typeIfLj2EEPS0_S2_.num_agpr, 0
	.set _Z39comm_manual_aosoa_constants_direct_permPK15HIP_vector_typeIfLj2EEPS0_S2_.numbered_sgpr, 28
	.set _Z39comm_manual_aosoa_constants_direct_permPK15HIP_vector_typeIfLj2EEPS0_S2_.num_named_barrier, 0
	.set _Z39comm_manual_aosoa_constants_direct_permPK15HIP_vector_typeIfLj2EEPS0_S2_.private_seg_size, 0
	.set _Z39comm_manual_aosoa_constants_direct_permPK15HIP_vector_typeIfLj2EEPS0_S2_.uses_vcc, 1
	.set _Z39comm_manual_aosoa_constants_direct_permPK15HIP_vector_typeIfLj2EEPS0_S2_.uses_flat_scratch, 0
	.set _Z39comm_manual_aosoa_constants_direct_permPK15HIP_vector_typeIfLj2EEPS0_S2_.has_dyn_sized_stack, 0
	.set _Z39comm_manual_aosoa_constants_direct_permPK15HIP_vector_typeIfLj2EEPS0_S2_.has_recursion, 0
	.set _Z39comm_manual_aosoa_constants_direct_permPK15HIP_vector_typeIfLj2EEPS0_S2_.has_indirect_call, 0
	.section	.AMDGPU.csdata,"",@progbits
; Kernel info:
; codeLenInByte = 1132
; TotalNumSgprs: 30
; NumVgprs: 45
; ScratchSize: 0
; MemoryBound: 0
; FloatMode: 240
; IeeeMode: 1
; LDSByteSize: 0 bytes/workgroup (compile time only)
; SGPRBlocks: 0
; VGPRBlocks: 5
; NumSGPRsForWavesPerEU: 30
; NumVGPRsForWavesPerEU: 45
; Occupancy: 16
; WaveLimiterHint : 1
; COMPUTE_PGM_RSRC2:SCRATCH_EN: 0
; COMPUTE_PGM_RSRC2:USER_SGPR: 6
; COMPUTE_PGM_RSRC2:TRAP_HANDLER: 0
; COMPUTE_PGM_RSRC2:TGID_X_EN: 1
; COMPUTE_PGM_RSRC2:TGID_Y_EN: 0
; COMPUTE_PGM_RSRC2:TGID_Z_EN: 0
; COMPUTE_PGM_RSRC2:TIDIG_COMP_CNT: 0
	.text
	.protected	_Z16final_gpu_kernelPK15HIP_vector_typeIfLj2EEPS0_S2_i ; -- Begin function _Z16final_gpu_kernelPK15HIP_vector_typeIfLj2EEPS0_S2_i
	.globl	_Z16final_gpu_kernelPK15HIP_vector_typeIfLj2EEPS0_S2_i
	.p2align	8
	.type	_Z16final_gpu_kernelPK15HIP_vector_typeIfLj2EEPS0_S2_i,@function
_Z16final_gpu_kernelPK15HIP_vector_typeIfLj2EEPS0_S2_i: ; @_Z16final_gpu_kernelPK15HIP_vector_typeIfLj2EEPS0_S2_i
; %bb.0:
	v_cmp_gt_u32_e32 vcc_lo, 49, v0
	v_cmp_eq_u32_e64 s0, 0, v1
	v_lshlrev_b32_e32 v2, 2, v0
	s_and_b32 s1, vcc_lo, s0
	s_and_saveexec_b32 s0, s1
	s_cbranch_execz .LBB24_2
; %bb.1:
	s_load_dwordx2 s[2:3], s[4:5], 0x10
	v_lshlrev_b32_e32 v3, 3, v0
	v_add_nc_u32_e32 v5, 0x400, v2
	s_waitcnt lgkmcnt(0)
	global_load_dwordx2 v[3:4], v3, s[2:3]
	s_waitcnt vmcnt(0)
	ds_write2_b32 v5, v4, v3 offset0:136 offset1:188
.LBB24_2:
	s_or_b32 exec_lo, exec_lo, s0
	s_load_dword s1, s[4:5], 0x18
	v_lshlrev_b32_e32 v3, 4, v1
	s_mov_b32 s2, exec_lo
	v_lshl_add_u32 v8, s6, 5, v3
	s_waitcnt lgkmcnt(0)
	v_cmpx_gt_i32_e64 s1, v8
	s_cbranch_execz .LBB24_9
; %bb.3:
	v_mul_u32_u24_e32 v3, 0x2493, v0
	s_load_dwordx4 s[8:11], s[4:5], 0x0
	s_movk_i32 s0, 0xc4
	v_mov_b32_e32 v5, 2
	v_mad_u32_u24 v6, v1, s0, 0x310
	v_lshrrev_b32_e32 v3, 16, v3
	v_add_nc_u32_e32 v4, 16, v8
	v_mad_u32_u24 v9, 0xc4, v1, v2
	s_mulk_i32 s6, 0x620
	v_add_nc_u32_e32 v11, v6, v2
	v_mul_lo_u16 v3, v3, 7
	v_min_i32_e32 v10, s1, v4
	s_mov_b32 s1, 0
                                        ; implicit-def: $vgpr22
                                        ; implicit-def: $vgpr23
                                        ; implicit-def: $vgpr20
                                        ; implicit-def: $vgpr21
	v_sub_nc_u16 v3, v0, v3
	v_sub_nc_u32_sdwa v7, v0, v3 dst_sel:DWORD dst_unused:UNUSED_PAD src0_sel:DWORD src1_sel:WORD_0
	v_lshlrev_b32_sdwa v3, v5, v3 dst_sel:DWORD dst_unused:UNUSED_PAD src0_sel:DWORD src1_sel:WORD_0
	v_mul_u32_u24_e32 v5, 0x310, v1
	v_lshlrev_b32_e32 v2, 2, v7
	v_add_nc_u32_e32 v12, v6, v3
	v_mad_u32_u24 v13, 0xc4, v1, v3
	v_add_nc_u32_e32 v14, 0x6f0, v3
	v_add_nc_u32_e32 v15, 0x620, v3
	;; [unrolled: 1-line block ×5, first 2 shown]
	v_mad_u32_u24 v19, 0xc4, v1, v2
	v_add3_u32 v0, v0, s6, v5
	s_branch .LBB24_5
.LBB24_4:                               ;   in Loop: Header=BB24_5 Depth=1
	s_or_b32 exec_lo, exec_lo, s2
	v_add_nc_u32_e32 v8, 2, v8
	v_add_nc_u32_e32 v0, 0x62, v0
	v_mov_b32_e32 v22, v4
	v_mov_b32_e32 v20, v6
	;; [unrolled: 1-line block ×3, first 2 shown]
	v_cmp_ge_i32_e64 s0, v8, v10
	v_mov_b32_e32 v21, v7
	s_or_b32 s1, s0, s1
	s_andn2_b32 exec_lo, exec_lo, s1
	s_cbranch_execz .LBB24_9
.LBB24_5:                               ; =>This Inner Loop Header: Depth=1
	v_add_nc_u32_e32 v2, 49, v0
	v_ashrrev_i32_e32 v1, 31, v0
	v_mov_b32_e32 v5, v23
	v_mov_b32_e32 v7, v21
	;; [unrolled: 1-line block ×3, first 2 shown]
	v_ashrrev_i32_e32 v3, 31, v2
	v_mov_b32_e32 v6, v20
	s_waitcnt lgkmcnt(0)
	s_barrier
	buffer_gl0_inv
	s_and_saveexec_b32 s2, vcc_lo
	s_cbranch_execz .LBB24_7
; %bb.6:                                ;   in Loop: Header=BB24_5 Depth=1
	v_lshlrev_b64 v[4:5], 3, v[0:1]
	v_lshlrev_b64 v[6:7], 3, v[2:3]
	v_add_co_u32 v20, s0, s8, v4
	v_add_co_ci_u32_e64 v21, null, s9, v5, s0
	v_add_co_u32 v4, s0, s10, v4
	v_add_co_ci_u32_e64 v5, null, s11, v5, s0
	;; [unrolled: 2-line block ×4, first 2 shown]
	s_clause 0x1
	global_load_dwordx2 v[4:5], v[4:5], off
	global_load_dwordx2 v[6:7], v[22:23], off
	s_clause 0x1
	global_load_dwordx2 v[26:27], v[20:21], off
	global_load_dwordx2 v[24:25], v[24:25], off
	s_waitcnt vmcnt(0)
	ds_write2_b32 v11, v26, v24 offset1:98
	ds_write2_b32 v9, v27, v25 offset1:98
	v_mov_b32_e32 v22, v4
	v_mov_b32_e32 v20, v6
	;; [unrolled: 1-line block ×4, first 2 shown]
.LBB24_7:                               ;   in Loop: Header=BB24_5 Depth=1
	s_or_b32 exec_lo, exec_lo, s2
	s_waitcnt lgkmcnt(0)
	s_barrier
	buffer_gl0_inv
	s_and_saveexec_b32 s2, vcc_lo
	s_cbranch_execz .LBB24_4
; %bb.8:                                ;   in Loop: Header=BB24_5 Depth=1
	ds_read2_b32 v[24:25], v16 offset1:1
	ds_read2_b32 v[26:27], v13 offset1:7
	;; [unrolled: 1-line block ×6, first 2 shown]
	ds_read2_b32 v[4:5], v12 offset0:42 offset1:98
	ds_read2_b32 v[36:37], v18 offset1:1
	ds_read2_b32 v[38:39], v15 offset1:7
	ds_read2_b32 v[6:7], v13 offset0:42 offset1:98
	ds_read2_b32 v[40:41], v16 offset0:2 offset1:3
	;; [unrolled: 1-line block ×3, first 2 shown]
	ds_read_b32 v64, v16 offset:24
	ds_read2_b32 v[44:45], v17 offset0:2 offset1:3
	ds_read2_b32 v[46:47], v17 offset0:4 offset1:5
	ds_read_b32 v65, v17 offset:24
	s_waitcnt lgkmcnt(14)
	v_fma_f32 v52, v26, v24, v22
	s_waitcnt lgkmcnt(13)
	v_fma_f32 v56, -v28, v24, v23
	ds_read2_b32 v[22:23], v19 offset0:98 offset1:99
	ds_read2_b32 v[48:49], v19 offset0:2 offset1:3
	;; [unrolled: 1-line block ×3, first 2 shown]
	s_waitcnt lgkmcnt(15)
	v_fmac_f32_e32 v52, v28, v30
	v_fmac_f32_e32 v56, v26, v30
	s_waitcnt lgkmcnt(9)
	v_fmac_f32_e32 v20, v7, v24
	v_fma_f32 v24, -v5, v24, v21
	v_fma_f32 v26, -v32, v34, v52
	v_fmac_f32_e32 v56, v36, v34
	ds_read2_b32 v[52:53], v18 offset0:2 offset1:3
	ds_read2_b32 v[54:55], v18 offset0:4 offset1:5
	v_fmac_f32_e32 v20, v5, v30
	v_fmac_f32_e32 v24, v7, v30
	;; [unrolled: 1-line block ×3, first 2 shown]
	v_fma_f32 v28, -v32, v38, v56
	s_waitcnt lgkmcnt(4)
	v_fma_f32 v7, -v22, v34, v20
	v_fmac_f32_e32 v26, v27, v25
	v_fma_f32 v5, -v29, v25, v28
	v_fmac_f32_e32 v26, v29, v31
	ds_read2_b32 v[28:29], v19 offset0:100 offset1:101
	ds_read2_b32 v[56:57], v19 offset0:102 offset1:103
	;; [unrolled: 1-line block ×6, first 2 shown]
	v_fmac_f32_e32 v5, v27, v31
	v_fma_f32 v36, -v33, v35, v26
	ds_read2_b32 v[26:27], v14 offset0:14 offset1:21
	v_fmac_f32_e32 v5, v37, v35
	v_fmac_f32_e32 v36, v37, v39
	v_fma_f32 v5, -v33, v39, v5
	ds_read2_b32 v[32:33], v13 offset0:119 offset1:126
	s_waitcnt lgkmcnt(4)
	v_fmac_f32_e32 v24, v20, v34
	v_fmac_f32_e32 v7, v20, v38
	v_fma_f32 v20, -v22, v38, v24
	s_waitcnt lgkmcnt(3)
	v_fmac_f32_e32 v7, v60, v25
	s_waitcnt lgkmcnt(2)
	v_fma_f32 v22, -v62, v25, v20
	v_fmac_f32_e32 v7, v62, v31
	ds_read2_b32 v[24:25], v12 offset0:14 offset1:21
	v_fmac_f32_e32 v22, v60, v31
	v_fma_f32 v7, -v23, v35, v7
	ds_read2_b32 v[30:31], v15 offset0:14 offset1:21
	v_fmac_f32_e32 v22, v21, v35
	v_fmac_f32_e32 v7, v21, v39
	ds_read2_b32 v[20:21], v13 offset0:14 offset1:21
	v_fma_f32 v34, -v23, v39, v22
	ds_read2_b32 v[22:23], v18 offset0:100 offset1:101
	v_fmac_f32_e32 v7, v61, v40
	ds_read2_b32 v[38:39], v12 offset0:28 offset1:35
	v_fma_f32 v37, -v63, v40, v34
	ds_read2_b32 v[34:35], v12 offset0:119 offset1:126
	s_waitcnt lgkmcnt(5)
	v_fma_f32 v5, -v24, v40, v5
	v_fmac_f32_e32 v7, v63, v44
	v_fmac_f32_e32 v37, v61, v44
	v_fma_f32 v7, -v28, v26, v7
	s_waitcnt lgkmcnt(3)
	v_fmac_f32_e32 v36, v20, v40
	v_fmac_f32_e32 v5, v20, v44
	s_waitcnt lgkmcnt(2)
	v_fmac_f32_e32 v37, v22, v26
	v_fmac_f32_e32 v36, v24, v44
	;; [unrolled: 1-line block ×4, first 2 shown]
	v_fma_f32 v20, -v28, v30, v37
	v_fma_f32 v24, -v48, v26, v36
	;; [unrolled: 1-line block ×3, first 2 shown]
	v_fmac_f32_e32 v7, v32, v41
	ds_read2_b32 v[36:37], v13 offset0:28 offset1:35
	s_waitcnt lgkmcnt(1)
	v_fma_f32 v26, -v34, v41, v20
	v_fmac_f32_e32 v24, v52, v30
	v_fma_f32 v5, -v25, v41, v5
	v_fmac_f32_e32 v7, v34, v45
	v_fmac_f32_e32 v26, v32, v45
	;; [unrolled: 1-line block ×4, first 2 shown]
	v_fma_f32 v7, -v29, v27, v7
	ds_read2_b32 v[20:21], v14 offset0:28 offset1:35
	v_fmac_f32_e32 v26, v23, v27
	v_fmac_f32_e32 v24, v25, v45
	;; [unrolled: 1-line block ×4, first 2 shown]
	ds_read2_b32 v[22:23], v15 offset0:28 offset1:35
	v_fma_f32 v26, -v29, v31, v26
	v_fma_f32 v28, -v49, v27, v24
	;; [unrolled: 1-line block ×3, first 2 shown]
	v_fmac_f32_e32 v7, v33, v42
	ds_read2_b32 v[24:25], v13 offset0:133 offset1:140
	v_fma_f32 v29, -v35, v42, v26
	v_fmac_f32_e32 v28, v53, v31
	ds_read2_b32 v[26:27], v12 offset0:133 offset1:140
	v_fma_f32 v5, -v38, v42, v5
	v_fmac_f32_e32 v7, v35, v46
	v_fmac_f32_e32 v29, v33, v46
	s_waitcnt lgkmcnt(4)
	v_fmac_f32_e32 v28, v36, v42
	ds_read2_b32 v[30:31], v19 offset0:6 offset1:104
	v_fmac_f32_e32 v5, v36, v46
	s_waitcnt lgkmcnt(4)
	v_fma_f32 v7, -v56, v20, v7
	v_fmac_f32_e32 v29, v50, v20
	v_fmac_f32_e32 v28, v38, v46
	;; [unrolled: 1-line block ×3, first 2 shown]
	s_waitcnt lgkmcnt(3)
	v_fmac_f32_e32 v7, v50, v22
	v_fma_f32 v32, -v58, v20, v28
	v_fma_f32 v20, -v56, v22, v29
	;; [unrolled: 1-line block ×3, first 2 shown]
	s_waitcnt lgkmcnt(2)
	v_fmac_f32_e32 v7, v24, v43
	ds_read2_b32 v[28:29], v18 offset0:6 offset1:104
	v_fmac_f32_e32 v32, v54, v22
	s_waitcnt lgkmcnt(2)
	v_fma_f32 v20, -v26, v43, v20
	v_fma_f32 v5, -v39, v43, v5
	v_fmac_f32_e32 v7, v26, v47
	ds_read_b32 v22, v14 offset:168
	ds_read_b32 v26, v15 offset:168
	v_fmac_f32_e32 v32, v37, v43
	v_fmac_f32_e32 v20, v24, v47
	v_fmac_f32_e32 v5, v37, v47
	v_fma_f32 v7, -v57, v21, v7
	v_fmac_f32_e32 v32, v39, v47
	v_fmac_f32_e32 v20, v51, v21
	;; [unrolled: 1-line block ×4, first 2 shown]
	v_fma_f32 v24, -v59, v21, v32
	v_fma_f32 v20, -v57, v23, v20
	;; [unrolled: 1-line block ×3, first 2 shown]
	v_fmac_f32_e32 v7, v25, v64
	v_fmac_f32_e32 v24, v55, v23
	v_fma_f32 v23, -v27, v64, v20
	v_fma_f32 v5, -v4, v64, v5
	v_fmac_f32_e32 v7, v27, v65
	v_lshlrev_b64 v[20:21], 3, v[0:1]
	v_fmac_f32_e32 v24, v6, v64
	v_fmac_f32_e32 v23, v25, v65
	;; [unrolled: 1-line block ×3, first 2 shown]
	v_lshlrev_b64 v[1:2], 3, v[2:3]
	s_waitcnt lgkmcnt(1)
	v_fma_f32 v6, -v31, v22, v7
	v_fmac_f32_e32 v24, v4, v65
	v_fmac_f32_e32 v23, v29, v22
	;; [unrolled: 1-line block ×3, first 2 shown]
	v_add_co_u32 v20, s0, s10, v20
	v_fma_f32 v4, -v30, v22, v24
	v_add_co_ci_u32_e64 v21, null, s11, v21, s0
	v_add_co_u32 v1, s0, s10, v1
	s_waitcnt lgkmcnt(0)
	v_fmac_f32_e32 v6, v29, v26
	v_fmac_f32_e32 v4, v28, v26
	v_fma_f32 v7, -v31, v26, v23
	v_fma_f32 v5, -v30, v26, v5
	v_add_co_ci_u32_e64 v2, null, s11, v2, s0
	global_store_dwordx2 v[20:21], v[4:5], off
	global_store_dwordx2 v[1:2], v[6:7], off
	s_branch .LBB24_4
.LBB24_9:
	s_endpgm
	.section	.rodata,"a",@progbits
	.p2align	6, 0x0
	.amdhsa_kernel _Z16final_gpu_kernelPK15HIP_vector_typeIfLj2EEPS0_S2_i
		.amdhsa_group_segment_fixed_size 1972
		.amdhsa_private_segment_fixed_size 0
		.amdhsa_kernarg_size 28
		.amdhsa_user_sgpr_count 6
		.amdhsa_user_sgpr_private_segment_buffer 1
		.amdhsa_user_sgpr_dispatch_ptr 0
		.amdhsa_user_sgpr_queue_ptr 0
		.amdhsa_user_sgpr_kernarg_segment_ptr 1
		.amdhsa_user_sgpr_dispatch_id 0
		.amdhsa_user_sgpr_flat_scratch_init 0
		.amdhsa_user_sgpr_private_segment_size 0
		.amdhsa_wavefront_size32 1
		.amdhsa_uses_dynamic_stack 0
		.amdhsa_system_sgpr_private_segment_wavefront_offset 0
		.amdhsa_system_sgpr_workgroup_id_x 1
		.amdhsa_system_sgpr_workgroup_id_y 0
		.amdhsa_system_sgpr_workgroup_id_z 0
		.amdhsa_system_sgpr_workgroup_info 0
		.amdhsa_system_vgpr_workitem_id 1
		.amdhsa_next_free_vgpr 66
		.amdhsa_next_free_sgpr 12
		.amdhsa_reserve_vcc 1
		.amdhsa_reserve_flat_scratch 0
		.amdhsa_float_round_mode_32 0
		.amdhsa_float_round_mode_16_64 0
		.amdhsa_float_denorm_mode_32 3
		.amdhsa_float_denorm_mode_16_64 3
		.amdhsa_dx10_clamp 1
		.amdhsa_ieee_mode 1
		.amdhsa_fp16_overflow 0
		.amdhsa_workgroup_processor_mode 1
		.amdhsa_memory_ordered 1
		.amdhsa_forward_progress 1
		.amdhsa_shared_vgpr_count 0
		.amdhsa_exception_fp_ieee_invalid_op 0
		.amdhsa_exception_fp_denorm_src 0
		.amdhsa_exception_fp_ieee_div_zero 0
		.amdhsa_exception_fp_ieee_overflow 0
		.amdhsa_exception_fp_ieee_underflow 0
		.amdhsa_exception_fp_ieee_inexact 0
		.amdhsa_exception_int_div_zero 0
	.end_amdhsa_kernel
	.text
.Lfunc_end24:
	.size	_Z16final_gpu_kernelPK15HIP_vector_typeIfLj2EEPS0_S2_i, .Lfunc_end24-_Z16final_gpu_kernelPK15HIP_vector_typeIfLj2EEPS0_S2_i
                                        ; -- End function
	.set _Z16final_gpu_kernelPK15HIP_vector_typeIfLj2EEPS0_S2_i.num_vgpr, 66
	.set _Z16final_gpu_kernelPK15HIP_vector_typeIfLj2EEPS0_S2_i.num_agpr, 0
	.set _Z16final_gpu_kernelPK15HIP_vector_typeIfLj2EEPS0_S2_i.numbered_sgpr, 12
	.set _Z16final_gpu_kernelPK15HIP_vector_typeIfLj2EEPS0_S2_i.num_named_barrier, 0
	.set _Z16final_gpu_kernelPK15HIP_vector_typeIfLj2EEPS0_S2_i.private_seg_size, 0
	.set _Z16final_gpu_kernelPK15HIP_vector_typeIfLj2EEPS0_S2_i.uses_vcc, 1
	.set _Z16final_gpu_kernelPK15HIP_vector_typeIfLj2EEPS0_S2_i.uses_flat_scratch, 0
	.set _Z16final_gpu_kernelPK15HIP_vector_typeIfLj2EEPS0_S2_i.has_dyn_sized_stack, 0
	.set _Z16final_gpu_kernelPK15HIP_vector_typeIfLj2EEPS0_S2_i.has_recursion, 0
	.set _Z16final_gpu_kernelPK15HIP_vector_typeIfLj2EEPS0_S2_i.has_indirect_call, 0
	.section	.AMDGPU.csdata,"",@progbits
; Kernel info:
; codeLenInByte = 1716
; TotalNumSgprs: 14
; NumVgprs: 66
; ScratchSize: 0
; MemoryBound: 0
; FloatMode: 240
; IeeeMode: 1
; LDSByteSize: 1972 bytes/workgroup (compile time only)
; SGPRBlocks: 0
; VGPRBlocks: 8
; NumSGPRsForWavesPerEU: 14
; NumVGPRsForWavesPerEU: 66
; Occupancy: 12
; WaveLimiterHint : 0
; COMPUTE_PGM_RSRC2:SCRATCH_EN: 0
; COMPUTE_PGM_RSRC2:USER_SGPR: 6
; COMPUTE_PGM_RSRC2:TRAP_HANDLER: 0
; COMPUTE_PGM_RSRC2:TGID_X_EN: 1
; COMPUTE_PGM_RSRC2:TGID_Y_EN: 0
; COMPUTE_PGM_RSRC2:TGID_Z_EN: 0
; COMPUTE_PGM_RSRC2:TIDIG_COMP_CNT: 1
	.text
	.p2alignl 6, 3214868480
	.fill 48, 4, 3214868480
	.section	.AMDGPU.gpr_maximums,"",@progbits
	.set amdgpu.max_num_vgpr, 0
	.set amdgpu.max_num_agpr, 0
	.set amdgpu.max_num_sgpr, 0
	.text
	.type	__hip_cuid_dab170055fb8ac55,@object ; @__hip_cuid_dab170055fb8ac55
	.section	.bss,"aw",@nobits
	.globl	__hip_cuid_dab170055fb8ac55
__hip_cuid_dab170055fb8ac55:
	.byte	0                               ; 0x0
	.size	__hip_cuid_dab170055fb8ac55, 1

	.ident	"AMD clang version 22.0.0git (https://github.com/RadeonOpenCompute/llvm-project roc-7.2.4 26084 f58b06dce1f9c15707c5f808fd002e18c2accf7e)"
	.section	".note.GNU-stack","",@progbits
	.addrsig
	.addrsig_sym __hip_cuid_dab170055fb8ac55
	.amdgpu_metadata
---
amdhsa.kernels:
  - .args:
      - .actual_access:  read_only
        .address_space:  global
        .offset:         0
        .size:           8
        .value_kind:     global_buffer
      - .actual_access:  read_only
        .address_space:  global
        .offset:         8
        .size:           8
        .value_kind:     global_buffer
      - .actual_access:  read_only
        .address_space:  global
        .offset:         16
        .size:           8
        .value_kind:     global_buffer
    .group_segment_fixed_size: 0
    .kernarg_segment_align: 8
    .kernarg_segment_size: 24
    .language:       OpenCL C
    .language_version:
      - 2
      - 0
    .max_flat_workgroup_size: 1024
    .name:           _Z10comm_emptyP15HIP_vector_typeIfLj2EES1_S1_
    .private_segment_fixed_size: 0
    .sgpr_count:     0
    .sgpr_spill_count: 0
    .symbol:         _Z10comm_emptyP15HIP_vector_typeIfLj2EES1_S1_.kd
    .uniform_work_group_size: 1
    .uses_dynamic_stack: false
    .vgpr_count:     0
    .vgpr_spill_count: 0
    .wavefront_size: 32
    .workgroup_processor_mode: 1
  - .args:
      - .actual_access:  read_only
        .address_space:  global
        .offset:         0
        .size:           8
        .value_kind:     global_buffer
      - .address_space:  global
        .offset:         8
        .size:           8
        .value_kind:     global_buffer
      - .actual_access:  read_only
        .address_space:  global
        .offset:         16
        .size:           8
        .value_kind:     global_buffer
      - .offset:         24
        .size:           4
        .value_kind:     by_value
      - .offset:         32
        .size:           4
        .value_kind:     hidden_block_count_x
      - .offset:         36
        .size:           4
        .value_kind:     hidden_block_count_y
      - .offset:         40
        .size:           4
        .value_kind:     hidden_block_count_z
      - .offset:         44
        .size:           2
        .value_kind:     hidden_group_size_x
      - .offset:         46
        .size:           2
        .value_kind:     hidden_group_size_y
      - .offset:         48
        .size:           2
        .value_kind:     hidden_group_size_z
      - .offset:         50
        .size:           2
        .value_kind:     hidden_remainder_x
      - .offset:         52
        .size:           2
        .value_kind:     hidden_remainder_y
      - .offset:         54
        .size:           2
        .value_kind:     hidden_remainder_z
      - .offset:         72
        .size:           8
        .value_kind:     hidden_global_offset_x
      - .offset:         80
        .size:           8
        .value_kind:     hidden_global_offset_y
      - .offset:         88
        .size:           8
        .value_kind:     hidden_global_offset_z
      - .offset:         96
        .size:           2
        .value_kind:     hidden_grid_dims
    .group_segment_fixed_size: 0
    .kernarg_segment_align: 8
    .kernarg_segment_size: 288
    .language:       OpenCL C
    .language_version:
      - 2
      - 0
    .max_flat_workgroup_size: 1024
    .name:           _Z9comm_initPK15HIP_vector_typeIfLj2EEPS0_S2_i
    .private_segment_fixed_size: 0
    .sgpr_count:     26
    .sgpr_spill_count: 0
    .symbol:         _Z9comm_initPK15HIP_vector_typeIfLj2EEPS0_S2_i.kd
    .uniform_work_group_size: 1
    .uses_dynamic_stack: false
    .vgpr_count:     15
    .vgpr_spill_count: 0
    .wavefront_size: 32
    .workgroup_processor_mode: 1
  - .args:
      - .actual_access:  read_only
        .address_space:  global
        .offset:         0
        .size:           8
        .value_kind:     global_buffer
      - .address_space:  global
        .offset:         8
        .size:           8
        .value_kind:     global_buffer
      - .actual_access:  read_only
        .address_space:  global
        .offset:         16
        .size:           8
        .value_kind:     global_buffer
      - .offset:         24
        .size:           4
        .value_kind:     by_value
      - .offset:         32
        .size:           4
        .value_kind:     hidden_block_count_x
      - .offset:         36
        .size:           4
        .value_kind:     hidden_block_count_y
      - .offset:         40
        .size:           4
        .value_kind:     hidden_block_count_z
      - .offset:         44
        .size:           2
        .value_kind:     hidden_group_size_x
      - .offset:         46
        .size:           2
        .value_kind:     hidden_group_size_y
      - .offset:         48
        .size:           2
        .value_kind:     hidden_group_size_z
      - .offset:         50
        .size:           2
        .value_kind:     hidden_remainder_x
      - .offset:         52
        .size:           2
        .value_kind:     hidden_remainder_y
      - .offset:         54
        .size:           2
        .value_kind:     hidden_remainder_z
      - .offset:         72
        .size:           8
        .value_kind:     hidden_global_offset_x
      - .offset:         80
        .size:           8
        .value_kind:     hidden_global_offset_y
      - .offset:         88
        .size:           8
        .value_kind:     hidden_global_offset_z
      - .offset:         96
        .size:           2
        .value_kind:     hidden_grid_dims
    .group_segment_fixed_size: 0
    .kernarg_segment_align: 8
    .kernarg_segment_size: 288
    .language:       OpenCL C
    .language_version:
      - 2
      - 0
    .max_flat_workgroup_size: 1024
    .name:           _Z13comm_refactorPK15HIP_vector_typeIfLj2EEPS0_S2_i
    .private_segment_fixed_size: 0
    .sgpr_count:     38
    .sgpr_spill_count: 0
    .symbol:         _Z13comm_refactorPK15HIP_vector_typeIfLj2EEPS0_S2_i.kd
    .uniform_work_group_size: 1
    .uses_dynamic_stack: false
    .vgpr_count:     18
    .vgpr_spill_count: 0
    .wavefront_size: 32
    .workgroup_processor_mode: 1
  - .args:
      - .actual_access:  read_only
        .address_space:  global
        .offset:         0
        .size:           8
        .value_kind:     global_buffer
      - .address_space:  global
        .offset:         8
        .size:           8
        .value_kind:     global_buffer
      - .actual_access:  read_only
        .address_space:  global
        .offset:         16
        .size:           8
        .value_kind:     global_buffer
      - .offset:         24
        .size:           4
        .value_kind:     by_value
      - .offset:         32
        .size:           4
        .value_kind:     hidden_block_count_x
      - .offset:         36
        .size:           4
        .value_kind:     hidden_block_count_y
      - .offset:         40
        .size:           4
        .value_kind:     hidden_block_count_z
      - .offset:         44
        .size:           2
        .value_kind:     hidden_group_size_x
      - .offset:         46
        .size:           2
        .value_kind:     hidden_group_size_y
      - .offset:         48
        .size:           2
        .value_kind:     hidden_group_size_z
      - .offset:         50
        .size:           2
        .value_kind:     hidden_remainder_x
      - .offset:         52
        .size:           2
        .value_kind:     hidden_remainder_y
      - .offset:         54
        .size:           2
        .value_kind:     hidden_remainder_z
      - .offset:         72
        .size:           8
        .value_kind:     hidden_global_offset_x
      - .offset:         80
        .size:           8
        .value_kind:     hidden_global_offset_y
      - .offset:         88
        .size:           8
        .value_kind:     hidden_global_offset_z
      - .offset:         96
        .size:           2
        .value_kind:     hidden_grid_dims
    .group_segment_fixed_size: 0
    .kernarg_segment_align: 8
    .kernarg_segment_size: 288
    .language:       OpenCL C
    .language_version:
      - 2
      - 0
    .max_flat_workgroup_size: 1024
    .name:           _Z26comm_refactor_direct_storePK15HIP_vector_typeIfLj2EEPS0_S2_i
    .private_segment_fixed_size: 0
    .sgpr_count:     38
    .sgpr_spill_count: 0
    .symbol:         _Z26comm_refactor_direct_storePK15HIP_vector_typeIfLj2EEPS0_S2_i.kd
    .uniform_work_group_size: 1
    .uses_dynamic_stack: false
    .vgpr_count:     20
    .vgpr_spill_count: 0
    .wavefront_size: 32
    .workgroup_processor_mode: 1
  - .args:
      - .actual_access:  read_only
        .address_space:  global
        .offset:         0
        .size:           8
        .value_kind:     global_buffer
      - .address_space:  global
        .offset:         8
        .size:           8
        .value_kind:     global_buffer
      - .actual_access:  read_only
        .address_space:  global
        .offset:         16
        .size:           8
        .value_kind:     global_buffer
      - .offset:         24
        .size:           4
        .value_kind:     by_value
      - .offset:         32
        .size:           4
        .value_kind:     hidden_block_count_x
      - .offset:         36
        .size:           4
        .value_kind:     hidden_block_count_y
      - .offset:         40
        .size:           4
        .value_kind:     hidden_block_count_z
      - .offset:         44
        .size:           2
        .value_kind:     hidden_group_size_x
      - .offset:         46
        .size:           2
        .value_kind:     hidden_group_size_y
      - .offset:         48
        .size:           2
        .value_kind:     hidden_group_size_z
      - .offset:         50
        .size:           2
        .value_kind:     hidden_remainder_x
      - .offset:         52
        .size:           2
        .value_kind:     hidden_remainder_y
      - .offset:         54
        .size:           2
        .value_kind:     hidden_remainder_z
      - .offset:         72
        .size:           8
        .value_kind:     hidden_global_offset_x
      - .offset:         80
        .size:           8
        .value_kind:     hidden_global_offset_y
      - .offset:         88
        .size:           8
        .value_kind:     hidden_global_offset_z
      - .offset:         96
        .size:           2
        .value_kind:     hidden_grid_dims
    .group_segment_fixed_size: 0
    .kernarg_segment_align: 8
    .kernarg_segment_size: 288
    .language:       OpenCL C
    .language_version:
      - 2
      - 0
    .max_flat_workgroup_size: 1024
    .name:           _Z16comm_aosoa_naivePK15HIP_vector_typeIfLj2EEPS0_S2_i
    .private_segment_fixed_size: 0
    .sgpr_count:     38
    .sgpr_spill_count: 0
    .symbol:         _Z16comm_aosoa_naivePK15HIP_vector_typeIfLj2EEPS0_S2_i.kd
    .uniform_work_group_size: 1
    .uses_dynamic_stack: false
    .vgpr_count:     20
    .vgpr_spill_count: 0
    .wavefront_size: 32
    .workgroup_processor_mode: 1
  - .args:
      - .actual_access:  read_only
        .address_space:  global
        .offset:         0
        .size:           8
        .value_kind:     global_buffer
      - .address_space:  global
        .offset:         8
        .size:           8
        .value_kind:     global_buffer
      - .actual_access:  read_only
        .address_space:  global
        .offset:         16
        .size:           8
        .value_kind:     global_buffer
      - .offset:         24
        .size:           4
        .value_kind:     by_value
      - .offset:         32
        .size:           4
        .value_kind:     hidden_block_count_x
      - .offset:         36
        .size:           4
        .value_kind:     hidden_block_count_y
      - .offset:         40
        .size:           4
        .value_kind:     hidden_block_count_z
      - .offset:         44
        .size:           2
        .value_kind:     hidden_group_size_x
      - .offset:         46
        .size:           2
        .value_kind:     hidden_group_size_y
      - .offset:         48
        .size:           2
        .value_kind:     hidden_group_size_z
      - .offset:         50
        .size:           2
        .value_kind:     hidden_remainder_x
      - .offset:         52
        .size:           2
        .value_kind:     hidden_remainder_y
      - .offset:         54
        .size:           2
        .value_kind:     hidden_remainder_z
      - .offset:         72
        .size:           8
        .value_kind:     hidden_global_offset_x
      - .offset:         80
        .size:           8
        .value_kind:     hidden_global_offset_y
      - .offset:         88
        .size:           8
        .value_kind:     hidden_global_offset_z
      - .offset:         96
        .size:           2
        .value_kind:     hidden_grid_dims
    .group_segment_fixed_size: 0
    .kernarg_segment_align: 8
    .kernarg_segment_size: 288
    .language:       OpenCL C
    .language_version:
      - 2
      - 0
    .max_flat_workgroup_size: 1024
    .name:           _Z26comm_aosoa_naive_constantsPK15HIP_vector_typeIfLj2EEPS0_S2_i
    .private_segment_fixed_size: 0
    .sgpr_count:     38
    .sgpr_spill_count: 0
    .symbol:         _Z26comm_aosoa_naive_constantsPK15HIP_vector_typeIfLj2EEPS0_S2_i.kd
    .uniform_work_group_size: 1
    .uses_dynamic_stack: false
    .vgpr_count:     48
    .vgpr_spill_count: 0
    .wavefront_size: 32
    .workgroup_processor_mode: 1
  - .args:
      - .actual_access:  read_only
        .address_space:  global
        .offset:         0
        .size:           8
        .value_kind:     global_buffer
      - .address_space:  global
        .offset:         8
        .size:           8
        .value_kind:     global_buffer
      - .actual_access:  read_only
        .address_space:  global
        .offset:         16
        .size:           8
        .value_kind:     global_buffer
      - .offset:         24
        .size:           4
        .value_kind:     hidden_block_count_x
      - .offset:         28
        .size:           4
        .value_kind:     hidden_block_count_y
      - .offset:         32
        .size:           4
        .value_kind:     hidden_block_count_z
      - .offset:         36
        .size:           2
        .value_kind:     hidden_group_size_x
      - .offset:         38
        .size:           2
        .value_kind:     hidden_group_size_y
      - .offset:         40
        .size:           2
        .value_kind:     hidden_group_size_z
      - .offset:         42
        .size:           2
        .value_kind:     hidden_remainder_x
      - .offset:         44
        .size:           2
        .value_kind:     hidden_remainder_y
      - .offset:         46
        .size:           2
        .value_kind:     hidden_remainder_z
      - .offset:         64
        .size:           8
        .value_kind:     hidden_global_offset_x
      - .offset:         72
        .size:           8
        .value_kind:     hidden_global_offset_y
      - .offset:         80
        .size:           8
        .value_kind:     hidden_global_offset_z
      - .offset:         88
        .size:           2
        .value_kind:     hidden_grid_dims
    .group_segment_fixed_size: 0
    .kernarg_segment_align: 8
    .kernarg_segment_size: 280
    .language:       OpenCL C
    .language_version:
      - 2
      - 0
    .max_flat_workgroup_size: 1024
    .name:           _Z31comm_aosoa_naive_constants_permPK15HIP_vector_typeIfLj2EEPS0_S2_
    .private_segment_fixed_size: 0
    .sgpr_count:     30
    .sgpr_spill_count: 0
    .symbol:         _Z31comm_aosoa_naive_constants_permPK15HIP_vector_typeIfLj2EEPS0_S2_.kd
    .uniform_work_group_size: 1
    .uses_dynamic_stack: false
    .vgpr_count:     57
    .vgpr_spill_count: 0
    .wavefront_size: 32
    .workgroup_processor_mode: 1
  - .args:
      - .actual_access:  read_only
        .address_space:  global
        .offset:         0
        .size:           8
        .value_kind:     global_buffer
      - .address_space:  global
        .offset:         8
        .size:           8
        .value_kind:     global_buffer
      - .actual_access:  read_only
        .address_space:  global
        .offset:         16
        .size:           8
        .value_kind:     global_buffer
      - .offset:         24
        .size:           4
        .value_kind:     by_value
      - .offset:         32
        .size:           4
        .value_kind:     hidden_block_count_x
      - .offset:         36
        .size:           4
        .value_kind:     hidden_block_count_y
      - .offset:         40
        .size:           4
        .value_kind:     hidden_block_count_z
      - .offset:         44
        .size:           2
        .value_kind:     hidden_group_size_x
      - .offset:         46
        .size:           2
        .value_kind:     hidden_group_size_y
      - .offset:         48
        .size:           2
        .value_kind:     hidden_group_size_z
      - .offset:         50
        .size:           2
        .value_kind:     hidden_remainder_x
      - .offset:         52
        .size:           2
        .value_kind:     hidden_remainder_y
      - .offset:         54
        .size:           2
        .value_kind:     hidden_remainder_z
      - .offset:         72
        .size:           8
        .value_kind:     hidden_global_offset_x
      - .offset:         80
        .size:           8
        .value_kind:     hidden_global_offset_y
      - .offset:         88
        .size:           8
        .value_kind:     hidden_global_offset_z
      - .offset:         96
        .size:           2
        .value_kind:     hidden_grid_dims
    .group_segment_fixed_size: 0
    .kernarg_segment_align: 8
    .kernarg_segment_size: 288
    .language:       OpenCL C
    .language_version:
      - 2
      - 0
    .max_flat_workgroup_size: 1024
    .name:           _Z23comm_aosoa_naive_directPK15HIP_vector_typeIfLj2EEPS0_S2_i
    .private_segment_fixed_size: 0
    .sgpr_count:     38
    .sgpr_spill_count: 0
    .symbol:         _Z23comm_aosoa_naive_directPK15HIP_vector_typeIfLj2EEPS0_S2_i.kd
    .uniform_work_group_size: 1
    .uses_dynamic_stack: false
    .vgpr_count:     24
    .vgpr_spill_count: 0
    .wavefront_size: 32
    .workgroup_processor_mode: 1
  - .args:
      - .actual_access:  read_only
        .address_space:  global
        .offset:         0
        .size:           8
        .value_kind:     global_buffer
      - .address_space:  global
        .offset:         8
        .size:           8
        .value_kind:     global_buffer
      - .actual_access:  read_only
        .address_space:  global
        .offset:         16
        .size:           8
        .value_kind:     global_buffer
      - .offset:         24
        .size:           4
        .value_kind:     hidden_block_count_x
      - .offset:         28
        .size:           4
        .value_kind:     hidden_block_count_y
      - .offset:         32
        .size:           4
        .value_kind:     hidden_block_count_z
      - .offset:         36
        .size:           2
        .value_kind:     hidden_group_size_x
      - .offset:         38
        .size:           2
        .value_kind:     hidden_group_size_y
      - .offset:         40
        .size:           2
        .value_kind:     hidden_group_size_z
      - .offset:         42
        .size:           2
        .value_kind:     hidden_remainder_x
      - .offset:         44
        .size:           2
        .value_kind:     hidden_remainder_y
      - .offset:         46
        .size:           2
        .value_kind:     hidden_remainder_z
      - .offset:         64
        .size:           8
        .value_kind:     hidden_global_offset_x
      - .offset:         72
        .size:           8
        .value_kind:     hidden_global_offset_y
      - .offset:         80
        .size:           8
        .value_kind:     hidden_global_offset_z
      - .offset:         88
        .size:           2
        .value_kind:     hidden_grid_dims
    .group_segment_fixed_size: 0
    .kernarg_segment_align: 8
    .kernarg_segment_size: 280
    .language:       OpenCL C
    .language_version:
      - 2
      - 0
    .max_flat_workgroup_size: 1024
    .name:           _Z33comm_aosoa_naive_constants_directPK15HIP_vector_typeIfLj2EEPS0_S2_
    .private_segment_fixed_size: 0
    .sgpr_count:     38
    .sgpr_spill_count: 0
    .symbol:         _Z33comm_aosoa_naive_constants_directPK15HIP_vector_typeIfLj2EEPS0_S2_.kd
    .uniform_work_group_size: 1
    .uses_dynamic_stack: false
    .vgpr_count:     54
    .vgpr_spill_count: 0
    .wavefront_size: 32
    .workgroup_processor_mode: 1
  - .args:
      - .actual_access:  read_only
        .address_space:  global
        .offset:         0
        .size:           8
        .value_kind:     global_buffer
      - .address_space:  global
        .offset:         8
        .size:           8
        .value_kind:     global_buffer
      - .actual_access:  read_only
        .address_space:  global
        .offset:         16
        .size:           8
        .value_kind:     global_buffer
      - .offset:         24
        .size:           4
        .value_kind:     hidden_block_count_x
      - .offset:         28
        .size:           4
        .value_kind:     hidden_block_count_y
      - .offset:         32
        .size:           4
        .value_kind:     hidden_block_count_z
      - .offset:         36
        .size:           2
        .value_kind:     hidden_group_size_x
      - .offset:         38
        .size:           2
        .value_kind:     hidden_group_size_y
      - .offset:         40
        .size:           2
        .value_kind:     hidden_group_size_z
      - .offset:         42
        .size:           2
        .value_kind:     hidden_remainder_x
      - .offset:         44
        .size:           2
        .value_kind:     hidden_remainder_y
      - .offset:         46
        .size:           2
        .value_kind:     hidden_remainder_z
      - .offset:         64
        .size:           8
        .value_kind:     hidden_global_offset_x
      - .offset:         72
        .size:           8
        .value_kind:     hidden_global_offset_y
      - .offset:         80
        .size:           8
        .value_kind:     hidden_global_offset_z
      - .offset:         88
        .size:           2
        .value_kind:     hidden_grid_dims
    .group_segment_fixed_size: 0
    .kernarg_segment_align: 8
    .kernarg_segment_size: 280
    .language:       OpenCL C
    .language_version:
      - 2
      - 0
    .max_flat_workgroup_size: 1024
    .name:           _Z38comm_aosoa_naive_constants_direct_permPK15HIP_vector_typeIfLj2EEPS0_S2_
    .private_segment_fixed_size: 0
    .sgpr_count:     30
    .sgpr_spill_count: 0
    .symbol:         _Z38comm_aosoa_naive_constants_direct_permPK15HIP_vector_typeIfLj2EEPS0_S2_.kd
    .uniform_work_group_size: 1
    .uses_dynamic_stack: false
    .vgpr_count:     57
    .vgpr_spill_count: 0
    .wavefront_size: 32
    .workgroup_processor_mode: 1
  - .args:
      - .actual_access:  read_only
        .address_space:  global
        .offset:         0
        .size:           8
        .value_kind:     global_buffer
      - .address_space:  global
        .offset:         8
        .size:           8
        .value_kind:     global_buffer
      - .actual_access:  read_only
        .address_space:  global
        .offset:         16
        .size:           8
        .value_kind:     global_buffer
      - .offset:         24
        .size:           4
        .value_kind:     by_value
    .group_segment_fixed_size: 0
    .kernarg_segment_align: 8
    .kernarg_segment_size: 28
    .language:       OpenCL C
    .language_version:
      - 2
      - 0
    .max_flat_workgroup_size: 1024
    .name:           _Z10comm_aosoaPK15HIP_vector_typeIfLj2EEPS0_S2_i
    .private_segment_fixed_size: 0
    .sgpr_count:     38
    .sgpr_spill_count: 0
    .symbol:         _Z10comm_aosoaPK15HIP_vector_typeIfLj2EEPS0_S2_i.kd
    .uniform_work_group_size: 1
    .uses_dynamic_stack: false
    .vgpr_count:     19
    .vgpr_spill_count: 0
    .wavefront_size: 32
    .workgroup_processor_mode: 1
  - .args:
      - .actual_access:  read_only
        .address_space:  global
        .offset:         0
        .size:           8
        .value_kind:     global_buffer
      - .address_space:  global
        .offset:         8
        .size:           8
        .value_kind:     global_buffer
      - .actual_access:  read_only
        .address_space:  global
        .offset:         16
        .size:           8
        .value_kind:     global_buffer
    .group_segment_fixed_size: 0
    .kernarg_segment_align: 8
    .kernarg_segment_size: 24
    .language:       OpenCL C
    .language_version:
      - 2
      - 0
    .max_flat_workgroup_size: 1024
    .name:           _Z20comm_aosoa_constantsPK15HIP_vector_typeIfLj2EEPS0_S2_
    .private_segment_fixed_size: 0
    .sgpr_count:     38
    .sgpr_spill_count: 0
    .symbol:         _Z20comm_aosoa_constantsPK15HIP_vector_typeIfLj2EEPS0_S2_.kd
    .uniform_work_group_size: 1
    .uses_dynamic_stack: false
    .vgpr_count:     44
    .vgpr_spill_count: 0
    .wavefront_size: 32
    .workgroup_processor_mode: 1
  - .args:
      - .actual_access:  read_only
        .address_space:  global
        .offset:         0
        .size:           8
        .value_kind:     global_buffer
      - .address_space:  global
        .offset:         8
        .size:           8
        .value_kind:     global_buffer
      - .actual_access:  read_only
        .address_space:  global
        .offset:         16
        .size:           8
        .value_kind:     global_buffer
    .group_segment_fixed_size: 0
    .kernarg_segment_align: 8
    .kernarg_segment_size: 24
    .language:       OpenCL C
    .language_version:
      - 2
      - 0
    .max_flat_workgroup_size: 1024
    .name:           _Z25comm_aosoa_constants_permPK15HIP_vector_typeIfLj2EEPS0_S2_
    .private_segment_fixed_size: 0
    .sgpr_count:     30
    .sgpr_spill_count: 0
    .symbol:         _Z25comm_aosoa_constants_permPK15HIP_vector_typeIfLj2EEPS0_S2_.kd
    .uniform_work_group_size: 1
    .uses_dynamic_stack: false
    .vgpr_count:     58
    .vgpr_spill_count: 0
    .wavefront_size: 32
    .workgroup_processor_mode: 1
  - .args:
      - .actual_access:  read_only
        .address_space:  global
        .offset:         0
        .size:           8
        .value_kind:     global_buffer
      - .address_space:  global
        .offset:         8
        .size:           8
        .value_kind:     global_buffer
      - .actual_access:  read_only
        .address_space:  global
        .offset:         16
        .size:           8
        .value_kind:     global_buffer
      - .offset:         24
        .size:           4
        .value_kind:     by_value
    .group_segment_fixed_size: 0
    .kernarg_segment_align: 8
    .kernarg_segment_size: 28
    .language:       OpenCL C
    .language_version:
      - 2
      - 0
    .max_flat_workgroup_size: 1024
    .name:           _Z17comm_aosoa_directPK15HIP_vector_typeIfLj2EEPS0_S2_i
    .private_segment_fixed_size: 0
    .sgpr_count:     38
    .sgpr_spill_count: 0
    .symbol:         _Z17comm_aosoa_directPK15HIP_vector_typeIfLj2EEPS0_S2_i.kd
    .uniform_work_group_size: 1
    .uses_dynamic_stack: false
    .vgpr_count:     23
    .vgpr_spill_count: 0
    .wavefront_size: 32
    .workgroup_processor_mode: 1
  - .args:
      - .actual_access:  read_only
        .address_space:  global
        .offset:         0
        .size:           8
        .value_kind:     global_buffer
      - .address_space:  global
        .offset:         8
        .size:           8
        .value_kind:     global_buffer
      - .actual_access:  read_only
        .address_space:  global
        .offset:         16
        .size:           8
        .value_kind:     global_buffer
    .group_segment_fixed_size: 0
    .kernarg_segment_align: 8
    .kernarg_segment_size: 24
    .language:       OpenCL C
    .language_version:
      - 2
      - 0
    .max_flat_workgroup_size: 1024
    .name:           _Z27comm_aosoa_constants_directPK15HIP_vector_typeIfLj2EEPS0_S2_
    .private_segment_fixed_size: 0
    .sgpr_count:     38
    .sgpr_spill_count: 0
    .symbol:         _Z27comm_aosoa_constants_directPK15HIP_vector_typeIfLj2EEPS0_S2_.kd
    .uniform_work_group_size: 1
    .uses_dynamic_stack: false
    .vgpr_count:     49
    .vgpr_spill_count: 0
    .wavefront_size: 32
    .workgroup_processor_mode: 1
  - .args:
      - .actual_access:  read_only
        .address_space:  global
        .offset:         0
        .size:           8
        .value_kind:     global_buffer
      - .address_space:  global
        .offset:         8
        .size:           8
        .value_kind:     global_buffer
      - .actual_access:  read_only
        .address_space:  global
        .offset:         16
        .size:           8
        .value_kind:     global_buffer
    .group_segment_fixed_size: 0
    .kernarg_segment_align: 8
    .kernarg_segment_size: 24
    .language:       OpenCL C
    .language_version:
      - 2
      - 0
    .max_flat_workgroup_size: 1024
    .name:           _Z32comm_aosoa_constants_direct_permPK15HIP_vector_typeIfLj2EEPS0_S2_
    .private_segment_fixed_size: 0
    .sgpr_count:     30
    .sgpr_spill_count: 0
    .symbol:         _Z32comm_aosoa_constants_direct_permPK15HIP_vector_typeIfLj2EEPS0_S2_.kd
    .uniform_work_group_size: 1
    .uses_dynamic_stack: false
    .vgpr_count:     58
    .vgpr_spill_count: 0
    .wavefront_size: 32
    .workgroup_processor_mode: 1
  - .args:
      - .actual_access:  read_only
        .address_space:  global
        .offset:         0
        .size:           8
        .value_kind:     global_buffer
      - .address_space:  global
        .offset:         8
        .size:           8
        .value_kind:     global_buffer
      - .actual_access:  read_only
        .address_space:  global
        .offset:         16
        .size:           8
        .value_kind:     global_buffer
      - .offset:         24
        .size:           4
        .value_kind:     by_value
      - .offset:         32
        .size:           4
        .value_kind:     hidden_block_count_x
      - .offset:         36
        .size:           4
        .value_kind:     hidden_block_count_y
      - .offset:         40
        .size:           4
        .value_kind:     hidden_block_count_z
      - .offset:         44
        .size:           2
        .value_kind:     hidden_group_size_x
      - .offset:         46
        .size:           2
        .value_kind:     hidden_group_size_y
      - .offset:         48
        .size:           2
        .value_kind:     hidden_group_size_z
      - .offset:         50
        .size:           2
        .value_kind:     hidden_remainder_x
      - .offset:         52
        .size:           2
        .value_kind:     hidden_remainder_y
      - .offset:         54
        .size:           2
        .value_kind:     hidden_remainder_z
      - .offset:         72
        .size:           8
        .value_kind:     hidden_global_offset_x
      - .offset:         80
        .size:           8
        .value_kind:     hidden_global_offset_y
      - .offset:         88
        .size:           8
        .value_kind:     hidden_global_offset_z
      - .offset:         96
        .size:           2
        .value_kind:     hidden_grid_dims
    .group_segment_fixed_size: 0
    .kernarg_segment_align: 8
    .kernarg_segment_size: 288
    .language:       OpenCL C
    .language_version:
      - 2
      - 0
    .max_flat_workgroup_size: 1024
    .name:           _Z17comm_manual_aosoaPK15HIP_vector_typeIfLj2EEPS0_S2_i
    .private_segment_fixed_size: 0
    .sgpr_count:     37
    .sgpr_spill_count: 0
    .symbol:         _Z17comm_manual_aosoaPK15HIP_vector_typeIfLj2EEPS0_S2_i.kd
    .uniform_work_group_size: 1
    .uses_dynamic_stack: false
    .vgpr_count:     33
    .vgpr_spill_count: 0
    .wavefront_size: 32
    .workgroup_processor_mode: 1
  - .args:
      - .actual_access:  read_only
        .address_space:  global
        .offset:         0
        .size:           8
        .value_kind:     global_buffer
      - .address_space:  global
        .offset:         8
        .size:           8
        .value_kind:     global_buffer
      - .actual_access:  read_only
        .address_space:  global
        .offset:         16
        .size:           8
        .value_kind:     global_buffer
      - .offset:         24
        .size:           4
        .value_kind:     hidden_block_count_x
      - .offset:         28
        .size:           4
        .value_kind:     hidden_block_count_y
      - .offset:         32
        .size:           4
        .value_kind:     hidden_block_count_z
      - .offset:         36
        .size:           2
        .value_kind:     hidden_group_size_x
      - .offset:         38
        .size:           2
        .value_kind:     hidden_group_size_y
      - .offset:         40
        .size:           2
        .value_kind:     hidden_group_size_z
      - .offset:         42
        .size:           2
        .value_kind:     hidden_remainder_x
      - .offset:         44
        .size:           2
        .value_kind:     hidden_remainder_y
      - .offset:         46
        .size:           2
        .value_kind:     hidden_remainder_z
      - .offset:         64
        .size:           8
        .value_kind:     hidden_global_offset_x
      - .offset:         72
        .size:           8
        .value_kind:     hidden_global_offset_y
      - .offset:         80
        .size:           8
        .value_kind:     hidden_global_offset_z
      - .offset:         88
        .size:           2
        .value_kind:     hidden_grid_dims
    .group_segment_fixed_size: 0
    .kernarg_segment_align: 8
    .kernarg_segment_size: 280
    .language:       OpenCL C
    .language_version:
      - 2
      - 0
    .max_flat_workgroup_size: 1024
    .name:           _Z27comm_manual_aosoa_constantsPK15HIP_vector_typeIfLj2EEPS0_S2_
    .private_segment_fixed_size: 0
    .sgpr_count:     33
    .sgpr_spill_count: 0
    .symbol:         _Z27comm_manual_aosoa_constantsPK15HIP_vector_typeIfLj2EEPS0_S2_.kd
    .uniform_work_group_size: 1
    .uses_dynamic_stack: false
    .vgpr_count:     37
    .vgpr_spill_count: 0
    .wavefront_size: 32
    .workgroup_processor_mode: 1
  - .args:
      - .actual_access:  read_only
        .address_space:  global
        .offset:         0
        .size:           8
        .value_kind:     global_buffer
      - .address_space:  global
        .offset:         8
        .size:           8
        .value_kind:     global_buffer
      - .actual_access:  read_only
        .address_space:  global
        .offset:         16
        .size:           8
        .value_kind:     global_buffer
      - .offset:         24
        .size:           4
        .value_kind:     hidden_block_count_x
      - .offset:         28
        .size:           4
        .value_kind:     hidden_block_count_y
      - .offset:         32
        .size:           4
        .value_kind:     hidden_block_count_z
      - .offset:         36
        .size:           2
        .value_kind:     hidden_group_size_x
      - .offset:         38
        .size:           2
        .value_kind:     hidden_group_size_y
      - .offset:         40
        .size:           2
        .value_kind:     hidden_group_size_z
      - .offset:         42
        .size:           2
        .value_kind:     hidden_remainder_x
      - .offset:         44
        .size:           2
        .value_kind:     hidden_remainder_y
      - .offset:         46
        .size:           2
        .value_kind:     hidden_remainder_z
      - .offset:         64
        .size:           8
        .value_kind:     hidden_global_offset_x
      - .offset:         72
        .size:           8
        .value_kind:     hidden_global_offset_y
      - .offset:         80
        .size:           8
        .value_kind:     hidden_global_offset_z
      - .offset:         88
        .size:           2
        .value_kind:     hidden_grid_dims
    .group_segment_fixed_size: 0
    .kernarg_segment_align: 8
    .kernarg_segment_size: 280
    .language:       OpenCL C
    .language_version:
      - 2
      - 0
    .max_flat_workgroup_size: 1024
    .name:           _Z32comm_manual_aosoa_constants_permPK15HIP_vector_typeIfLj2EEPS0_S2_
    .private_segment_fixed_size: 0
    .sgpr_count:     30
    .sgpr_spill_count: 0
    .symbol:         _Z32comm_manual_aosoa_constants_permPK15HIP_vector_typeIfLj2EEPS0_S2_.kd
    .uniform_work_group_size: 1
    .uses_dynamic_stack: false
    .vgpr_count:     45
    .vgpr_spill_count: 0
    .wavefront_size: 32
    .workgroup_processor_mode: 1
  - .args:
      - .actual_access:  read_only
        .address_space:  global
        .offset:         0
        .size:           8
        .value_kind:     global_buffer
      - .address_space:  global
        .offset:         8
        .size:           8
        .value_kind:     global_buffer
      - .actual_access:  read_only
        .address_space:  global
        .offset:         16
        .size:           8
        .value_kind:     global_buffer
      - .offset:         24
        .size:           4
        .value_kind:     hidden_block_count_x
      - .offset:         28
        .size:           4
        .value_kind:     hidden_block_count_y
      - .offset:         32
        .size:           4
        .value_kind:     hidden_block_count_z
      - .offset:         36
        .size:           2
        .value_kind:     hidden_group_size_x
      - .offset:         38
        .size:           2
        .value_kind:     hidden_group_size_y
      - .offset:         40
        .size:           2
        .value_kind:     hidden_group_size_z
      - .offset:         42
        .size:           2
        .value_kind:     hidden_remainder_x
      - .offset:         44
        .size:           2
        .value_kind:     hidden_remainder_y
      - .offset:         46
        .size:           2
        .value_kind:     hidden_remainder_z
      - .offset:         64
        .size:           8
        .value_kind:     hidden_global_offset_x
      - .offset:         72
        .size:           8
        .value_kind:     hidden_global_offset_y
      - .offset:         80
        .size:           8
        .value_kind:     hidden_global_offset_z
      - .offset:         88
        .size:           2
        .value_kind:     hidden_grid_dims
    .group_segment_fixed_size: 0
    .kernarg_segment_align: 8
    .kernarg_segment_size: 280
    .language:       OpenCL C
    .language_version:
      - 2
      - 0
    .max_flat_workgroup_size: 1024
    .name:           _Z41comm_manual_aosoa_constants_perm_prefetchPK15HIP_vector_typeIfLj2EEPS0_S2_
    .private_segment_fixed_size: 0
    .sgpr_count:     33
    .sgpr_spill_count: 0
    .symbol:         _Z41comm_manual_aosoa_constants_perm_prefetchPK15HIP_vector_typeIfLj2EEPS0_S2_.kd
    .uniform_work_group_size: 1
    .uses_dynamic_stack: false
    .vgpr_count:     37
    .vgpr_spill_count: 0
    .wavefront_size: 32
    .workgroup_processor_mode: 1
  - .args:
      - .actual_access:  read_only
        .address_space:  global
        .offset:         0
        .size:           8
        .value_kind:     global_buffer
      - .address_space:  global
        .offset:         8
        .size:           8
        .value_kind:     global_buffer
      - .actual_access:  read_only
        .address_space:  global
        .offset:         16
        .size:           8
        .value_kind:     global_buffer
      - .offset:         24
        .size:           4
        .value_kind:     by_value
      - .offset:         32
        .size:           4
        .value_kind:     hidden_block_count_x
      - .offset:         36
        .size:           4
        .value_kind:     hidden_block_count_y
      - .offset:         40
        .size:           4
        .value_kind:     hidden_block_count_z
      - .offset:         44
        .size:           2
        .value_kind:     hidden_group_size_x
      - .offset:         46
        .size:           2
        .value_kind:     hidden_group_size_y
      - .offset:         48
        .size:           2
        .value_kind:     hidden_group_size_z
      - .offset:         50
        .size:           2
        .value_kind:     hidden_remainder_x
      - .offset:         52
        .size:           2
        .value_kind:     hidden_remainder_y
      - .offset:         54
        .size:           2
        .value_kind:     hidden_remainder_z
      - .offset:         72
        .size:           8
        .value_kind:     hidden_global_offset_x
      - .offset:         80
        .size:           8
        .value_kind:     hidden_global_offset_y
      - .offset:         88
        .size:           8
        .value_kind:     hidden_global_offset_z
      - .offset:         96
        .size:           2
        .value_kind:     hidden_grid_dims
    .group_segment_fixed_size: 0
    .kernarg_segment_align: 8
    .kernarg_segment_size: 288
    .language:       OpenCL C
    .language_version:
      - 2
      - 0
    .max_flat_workgroup_size: 1024
    .name:           _Z24comm_manual_aosoa_directPK15HIP_vector_typeIfLj2EEPS0_S2_i
    .private_segment_fixed_size: 0
    .sgpr_count:     37
    .sgpr_spill_count: 0
    .symbol:         _Z24comm_manual_aosoa_directPK15HIP_vector_typeIfLj2EEPS0_S2_i.kd
    .uniform_work_group_size: 1
    .uses_dynamic_stack: false
    .vgpr_count:     35
    .vgpr_spill_count: 0
    .wavefront_size: 32
    .workgroup_processor_mode: 1
  - .args:
      - .actual_access:  read_only
        .address_space:  global
        .offset:         0
        .size:           8
        .value_kind:     global_buffer
      - .address_space:  global
        .offset:         8
        .size:           8
        .value_kind:     global_buffer
      - .actual_access:  read_only
        .address_space:  global
        .offset:         16
        .size:           8
        .value_kind:     global_buffer
      - .offset:         24
        .size:           4
        .value_kind:     hidden_block_count_x
      - .offset:         28
        .size:           4
        .value_kind:     hidden_block_count_y
      - .offset:         32
        .size:           4
        .value_kind:     hidden_block_count_z
      - .offset:         36
        .size:           2
        .value_kind:     hidden_group_size_x
      - .offset:         38
        .size:           2
        .value_kind:     hidden_group_size_y
      - .offset:         40
        .size:           2
        .value_kind:     hidden_group_size_z
      - .offset:         42
        .size:           2
        .value_kind:     hidden_remainder_x
      - .offset:         44
        .size:           2
        .value_kind:     hidden_remainder_y
      - .offset:         46
        .size:           2
        .value_kind:     hidden_remainder_z
      - .offset:         64
        .size:           8
        .value_kind:     hidden_global_offset_x
      - .offset:         72
        .size:           8
        .value_kind:     hidden_global_offset_y
      - .offset:         80
        .size:           8
        .value_kind:     hidden_global_offset_z
      - .offset:         88
        .size:           2
        .value_kind:     hidden_grid_dims
    .group_segment_fixed_size: 0
    .kernarg_segment_align: 8
    .kernarg_segment_size: 280
    .language:       OpenCL C
    .language_version:
      - 2
      - 0
    .max_flat_workgroup_size: 1024
    .name:           _Z34comm_manual_aosoa_constants_directPK15HIP_vector_typeIfLj2EEPS0_S2_
    .private_segment_fixed_size: 0
    .sgpr_count:     30
    .sgpr_spill_count: 0
    .symbol:         _Z34comm_manual_aosoa_constants_directPK15HIP_vector_typeIfLj2EEPS0_S2_.kd
    .uniform_work_group_size: 1
    .uses_dynamic_stack: false
    .vgpr_count:     49
    .vgpr_spill_count: 0
    .wavefront_size: 32
    .workgroup_processor_mode: 1
  - .args:
      - .actual_access:  read_only
        .address_space:  global
        .offset:         0
        .size:           8
        .value_kind:     global_buffer
      - .address_space:  global
        .offset:         8
        .size:           8
        .value_kind:     global_buffer
      - .actual_access:  read_only
        .address_space:  global
        .offset:         16
        .size:           8
        .value_kind:     global_buffer
      - .offset:         24
        .size:           4
        .value_kind:     hidden_block_count_x
      - .offset:         28
        .size:           4
        .value_kind:     hidden_block_count_y
      - .offset:         32
        .size:           4
        .value_kind:     hidden_block_count_z
      - .offset:         36
        .size:           2
        .value_kind:     hidden_group_size_x
      - .offset:         38
        .size:           2
        .value_kind:     hidden_group_size_y
      - .offset:         40
        .size:           2
        .value_kind:     hidden_group_size_z
      - .offset:         42
        .size:           2
        .value_kind:     hidden_remainder_x
      - .offset:         44
        .size:           2
        .value_kind:     hidden_remainder_y
      - .offset:         46
        .size:           2
        .value_kind:     hidden_remainder_z
      - .offset:         64
        .size:           8
        .value_kind:     hidden_global_offset_x
      - .offset:         72
        .size:           8
        .value_kind:     hidden_global_offset_y
      - .offset:         80
        .size:           8
        .value_kind:     hidden_global_offset_z
      - .offset:         88
        .size:           2
        .value_kind:     hidden_grid_dims
    .group_segment_fixed_size: 0
    .kernarg_segment_align: 8
    .kernarg_segment_size: 280
    .language:       OpenCL C
    .language_version:
      - 2
      - 0
    .max_flat_workgroup_size: 1024
    .name:           _Z43comm_manual_aosoa_constants_direct_prefetchPK15HIP_vector_typeIfLj2EEPS0_S2_
    .private_segment_fixed_size: 0
    .sgpr_count:     30
    .sgpr_spill_count: 0
    .symbol:         _Z43comm_manual_aosoa_constants_direct_prefetchPK15HIP_vector_typeIfLj2EEPS0_S2_.kd
    .uniform_work_group_size: 1
    .uses_dynamic_stack: false
    .vgpr_count:     49
    .vgpr_spill_count: 0
    .wavefront_size: 32
    .workgroup_processor_mode: 1
  - .args:
      - .actual_access:  read_only
        .address_space:  global
        .offset:         0
        .size:           8
        .value_kind:     global_buffer
      - .address_space:  global
        .offset:         8
        .size:           8
        .value_kind:     global_buffer
      - .actual_access:  read_only
        .address_space:  global
        .offset:         16
        .size:           8
        .value_kind:     global_buffer
      - .offset:         24
        .size:           4
        .value_kind:     hidden_block_count_x
      - .offset:         28
        .size:           4
        .value_kind:     hidden_block_count_y
      - .offset:         32
        .size:           4
        .value_kind:     hidden_block_count_z
      - .offset:         36
        .size:           2
        .value_kind:     hidden_group_size_x
      - .offset:         38
        .size:           2
        .value_kind:     hidden_group_size_y
      - .offset:         40
        .size:           2
        .value_kind:     hidden_group_size_z
      - .offset:         42
        .size:           2
        .value_kind:     hidden_remainder_x
      - .offset:         44
        .size:           2
        .value_kind:     hidden_remainder_y
      - .offset:         46
        .size:           2
        .value_kind:     hidden_remainder_z
      - .offset:         64
        .size:           8
        .value_kind:     hidden_global_offset_x
      - .offset:         72
        .size:           8
        .value_kind:     hidden_global_offset_y
      - .offset:         80
        .size:           8
        .value_kind:     hidden_global_offset_z
      - .offset:         88
        .size:           2
        .value_kind:     hidden_grid_dims
    .group_segment_fixed_size: 0
    .kernarg_segment_align: 8
    .kernarg_segment_size: 280
    .language:       OpenCL C
    .language_version:
      - 2
      - 0
    .max_flat_workgroup_size: 1024
    .name:           _Z39comm_manual_aosoa_constants_direct_permPK15HIP_vector_typeIfLj2EEPS0_S2_
    .private_segment_fixed_size: 0
    .sgpr_count:     30
    .sgpr_spill_count: 0
    .symbol:         _Z39comm_manual_aosoa_constants_direct_permPK15HIP_vector_typeIfLj2EEPS0_S2_.kd
    .uniform_work_group_size: 1
    .uses_dynamic_stack: false
    .vgpr_count:     45
    .vgpr_spill_count: 0
    .wavefront_size: 32
    .workgroup_processor_mode: 1
  - .args:
      - .actual_access:  read_only
        .address_space:  global
        .offset:         0
        .size:           8
        .value_kind:     global_buffer
      - .address_space:  global
        .offset:         8
        .size:           8
        .value_kind:     global_buffer
      - .actual_access:  read_only
        .address_space:  global
        .offset:         16
        .size:           8
        .value_kind:     global_buffer
      - .offset:         24
        .size:           4
        .value_kind:     by_value
    .group_segment_fixed_size: 1972
    .kernarg_segment_align: 8
    .kernarg_segment_size: 28
    .language:       OpenCL C
    .language_version:
      - 2
      - 0
    .max_flat_workgroup_size: 1024
    .name:           _Z16final_gpu_kernelPK15HIP_vector_typeIfLj2EEPS0_S2_i
    .private_segment_fixed_size: 0
    .sgpr_count:     14
    .sgpr_spill_count: 0
    .symbol:         _Z16final_gpu_kernelPK15HIP_vector_typeIfLj2EEPS0_S2_i.kd
    .uniform_work_group_size: 1
    .uses_dynamic_stack: false
    .vgpr_count:     66
    .vgpr_spill_count: 0
    .wavefront_size: 32
    .workgroup_processor_mode: 1
amdhsa.target:   amdgcn-amd-amdhsa--gfx1030
amdhsa.version:
  - 1
  - 2
...

	.end_amdgpu_metadata
